;; amdgpu-corpus repo=ROCm/rocFFT kind=compiled arch=gfx906 opt=O3
	.text
	.amdgcn_target "amdgcn-amd-amdhsa--gfx906"
	.amdhsa_code_object_version 6
	.protected	bluestein_single_back_len77_dim1_half_op_CI_CI ; -- Begin function bluestein_single_back_len77_dim1_half_op_CI_CI
	.globl	bluestein_single_back_len77_dim1_half_op_CI_CI
	.p2align	8
	.type	bluestein_single_back_len77_dim1_half_op_CI_CI,@function
bluestein_single_back_len77_dim1_half_op_CI_CI: ; @bluestein_single_back_len77_dim1_half_op_CI_CI
; %bb.0:
	v_mul_u32_u24_e32 v1, 0x1746, v0
	s_load_dwordx4 s[8:11], s[4:5], 0x28
	v_lshrrev_b32_e32 v1, 16, v1
	v_mad_u64_u32 v[8:9], s[0:1], s6, 23, v[1:2]
	v_mov_b32_e32 v9, 0
	s_waitcnt lgkmcnt(0)
	v_cmp_gt_u64_e32 vcc, s[8:9], v[8:9]
	s_and_saveexec_b64 s[0:1], vcc
	s_cbranch_execz .LBB0_10
; %bb.1:
	s_load_dwordx4 s[0:3], s[4:5], 0x18
	s_load_dwordx4 s[12:15], s[4:5], 0x0
	v_mul_lo_u16_e32 v1, 11, v1
	v_sub_u16_e32 v30, v0, v1
	v_lshlrev_b32_e32 v33, 2, v30
	s_waitcnt lgkmcnt(0)
	s_load_dwordx4 s[16:19], s[0:1], 0x0
	s_mov_b32 s6, 0xffff
                                        ; implicit-def: $vgpr48
                                        ; implicit-def: $vgpr49
                                        ; implicit-def: $vgpr50
                                        ; implicit-def: $vgpr51
                                        ; implicit-def: $vgpr52
                                        ; implicit-def: $vgpr21
	s_waitcnt lgkmcnt(0)
	v_mad_u64_u32 v[0:1], s[0:1], s18, v8, 0
	v_mad_u64_u32 v[2:3], s[0:1], s16, v30, 0
	;; [unrolled: 1-line block ×4, first 2 shown]
	v_mov_b32_e32 v1, v4
	v_lshlrev_b64 v[0:1], 2, v[0:1]
	v_mov_b32_e32 v6, s11
	v_mov_b32_e32 v3, v5
	v_add_co_u32_e32 v4, vcc, s10, v0
	v_addc_co_u32_e32 v5, vcc, v6, v1, vcc
	v_lshlrev_b64 v[0:1], 2, v[2:3]
	s_mul_i32 s0, s17, 44
	v_add_co_u32_e32 v0, vcc, v4, v0
	s_mul_hi_u32 s1, s16, 44
	v_addc_co_u32_e32 v1, vcc, v5, v1, vcc
	s_add_i32 s0, s1, s0
	s_mul_i32 s1, s16, 44
	global_load_dword v2, v[0:1], off
	v_mov_b32_e32 v3, s0
	v_add_co_u32_e32 v0, vcc, s1, v0
	v_addc_co_u32_e32 v1, vcc, v1, v3, vcc
	global_load_dword v3, v[0:1], off
	global_load_dword v31, v33, s[12:13]
	global_load_dword v29, v33, s[12:13] offset:44
	v_mov_b32_e32 v4, s0
	v_add_co_u32_e32 v0, vcc, s1, v0
	v_addc_co_u32_e32 v1, vcc, v1, v4, vcc
	global_load_dword v4, v[0:1], off
	global_load_dword v28, v33, s[12:13] offset:88
	v_mov_b32_e32 v5, s0
	v_add_co_u32_e32 v0, vcc, s1, v0
	v_addc_co_u32_e32 v1, vcc, v1, v5, vcc
	global_load_dword v5, v[0:1], off
	;; [unrolled: 5-line block ×5, first 2 shown]
	global_load_dword v23, v33, s[12:13] offset:264
	s_mov_b32 s0, 0xb21642c9
	v_mul_hi_u32 v0, v8, s0
	s_load_dwordx4 s[8:11], s[2:3], 0x0
	s_movk_i32 s0, 0x3a52
	s_movk_i32 s2, 0x3b00
	v_lshrrev_b32_e32 v0, 4, v0
	v_mul_lo_u32 v0, v0, 23
	s_movk_i32 s1, 0x3574
	s_mov_b32 s3, 0xb846
	v_add_co_u32_e32 v13, vcc, s12, v33
	v_sub_u32_e32 v0, v8, v0
	v_mul_u32_u24_e32 v0, 0x4d, v0
	v_lshlrev_b32_e32 v32, 2, v0
	v_add_u32_e32 v24, v33, v32
	s_waitcnt vmcnt(13)
	v_lshrrev_b32_e32 v0, 16, v2
	s_waitcnt vmcnt(11)
	v_mul_f16_sdwa v1, v31, v2 dst_sel:DWORD dst_unused:UNUSED_PAD src0_sel:WORD_1 src1_sel:DWORD
	v_mul_f16_sdwa v10, v31, v0 dst_sel:DWORD dst_unused:UNUSED_PAD src0_sel:WORD_1 src1_sel:DWORD
	v_fma_f16 v0, v31, v0, -v1
	v_lshrrev_b32_e32 v1, 16, v3
	s_waitcnt vmcnt(10)
	v_mul_f16_sdwa v11, v29, v3 dst_sel:DWORD dst_unused:UNUSED_PAD src0_sel:WORD_1 src1_sel:DWORD
	v_fma_f16 v2, v31, v2, v10
	v_mul_f16_sdwa v10, v29, v1 dst_sel:DWORD dst_unused:UNUSED_PAD src0_sel:WORD_1 src1_sel:DWORD
	v_fma_f16 v1, v29, v1, -v11
	s_waitcnt vmcnt(9)
	v_lshrrev_b32_e32 v11, 16, v4
	s_waitcnt vmcnt(8)
	v_mul_f16_sdwa v12, v28, v4 dst_sel:DWORD dst_unused:UNUSED_PAD src0_sel:WORD_1 src1_sel:DWORD
	v_pack_b32_f16 v0, v2, v0
	v_fma_f16 v2, v29, v3, v10
	v_mul_f16_sdwa v3, v28, v11 dst_sel:DWORD dst_unused:UNUSED_PAD src0_sel:WORD_1 src1_sel:DWORD
	v_fma_f16 v10, v28, v11, -v12
	s_waitcnt vmcnt(7)
	v_lshrrev_b32_e32 v11, 16, v5
	s_waitcnt vmcnt(6)
	v_mul_f16_sdwa v12, v27, v5 dst_sel:DWORD dst_unused:UNUSED_PAD src0_sel:WORD_1 src1_sel:DWORD
	v_pack_b32_f16 v1, v2, v1
	v_fma_f16 v2, v28, v4, v3
	v_mul_f16_sdwa v3, v27, v11 dst_sel:DWORD dst_unused:UNUSED_PAD src0_sel:WORD_1 src1_sel:DWORD
	v_fma_f16 v4, v27, v11, -v12
	ds_write2_b32 v24, v0, v1 offset1:11
	v_fma_f16 v1, v27, v5, v3
	v_pack_b32_f16 v0, v2, v10
	v_pack_b32_f16 v1, v1, v4
	ds_write2_b32 v24, v0, v1 offset0:22 offset1:33
	s_waitcnt vmcnt(5)
	v_lshrrev_b32_e32 v0, 16, v6
	s_waitcnt vmcnt(4)
	v_mul_f16_sdwa v1, v26, v0 dst_sel:DWORD dst_unused:UNUSED_PAD src0_sel:WORD_1 src1_sel:DWORD
	v_mul_f16_sdwa v2, v26, v6 dst_sel:DWORD dst_unused:UNUSED_PAD src0_sel:WORD_1 src1_sel:DWORD
	v_fma_f16 v1, v26, v6, v1
	v_fma_f16 v0, v26, v0, -v2
	v_pack_b32_f16 v0, v1, v0
	s_waitcnt vmcnt(3)
	v_lshrrev_b32_e32 v1, 16, v7
	s_waitcnt vmcnt(2)
	v_mul_f16_sdwa v2, v25, v1 dst_sel:DWORD dst_unused:UNUSED_PAD src0_sel:WORD_1 src1_sel:DWORD
	v_mul_f16_sdwa v3, v25, v7 dst_sel:DWORD dst_unused:UNUSED_PAD src0_sel:WORD_1 src1_sel:DWORD
	v_fma_f16 v2, v25, v7, v2
	v_fma_f16 v1, v25, v1, -v3
	v_pack_b32_f16 v1, v2, v1
	ds_write2_b32 v24, v0, v1 offset0:44 offset1:55
	s_waitcnt vmcnt(1)
	v_lshrrev_b32_e32 v0, 16, v9
	s_waitcnt vmcnt(0)
	v_mul_f16_sdwa v1, v23, v0 dst_sel:DWORD dst_unused:UNUSED_PAD src0_sel:WORD_1 src1_sel:DWORD
	v_mul_f16_sdwa v2, v23, v9 dst_sel:DWORD dst_unused:UNUSED_PAD src0_sel:WORD_1 src1_sel:DWORD
	v_fma_f16 v1, v23, v9, v1
	v_fma_f16 v0, v23, v0, -v2
	v_pack_b32_f16 v0, v1, v0
	ds_write_b32 v24, v0 offset:264
	s_waitcnt lgkmcnt(0)
	s_barrier
	ds_read2_b32 v[0:1], v24 offset1:11
	ds_read_b32 v6, v24 offset:264
	ds_read2_b32 v[2:3], v24 offset0:22 offset1:33
	ds_read2_b32 v[4:5], v24 offset0:44 offset1:55
	s_waitcnt lgkmcnt(0)
	s_barrier
	v_pk_add_f16 v7, v1, v6
	v_pk_add_f16 v1, v1, v6 neg_lo:[0,1] neg_hi:[0,1]
	v_pk_add_f16 v6, v2, v5
	v_pk_add_f16 v2, v2, v5 neg_lo:[0,1] neg_hi:[0,1]
	;; [unrolled: 2-line block ×3, first 2 shown]
	v_pk_add_f16 v4, v6, v7
	v_pk_add_f16 v10, v3, v2 op_sel:[1,1] op_sel_hi:[0,0]
	v_pk_add_f16 v9, v6, v7 neg_lo:[0,1] neg_hi:[0,1]
	v_pk_add_f16 v7, v7, v5 neg_lo:[0,1] neg_hi:[0,1]
	v_pk_add_f16 v4, v5, v4
	v_pk_add_f16 v5, v5, v6 neg_lo:[0,1] neg_hi:[0,1]
	v_pk_add_f16 v6, v1, v3 op_sel:[1,1] op_sel_hi:[0,0] neg_lo:[0,1] neg_hi:[0,1]
	v_pk_add_f16 v10, v10, v1 op_sel:[0,1] op_sel_hi:[1,0]
	v_pk_add_f16 v1, v2, v1 op_sel:[1,1] op_sel_hi:[0,0] neg_lo:[0,1] neg_hi:[0,1]
	v_pk_add_f16 v11, v4, v0
	v_pk_mul_f16 v0, v7, s0 op_sel_hi:[1,0]
	s_movk_i32 s0, 0x39e0
	v_pk_mul_f16 v1, v1, s2 op_sel_hi:[1,0]
	s_mov_b32 s2, 0xbcab
	v_pk_add_f16 v2, v3, v2 op_sel:[1,1] op_sel_hi:[0,0] neg_lo:[0,1] neg_hi:[0,1]
	v_pk_mul_f16 v3, v9, s0 op_sel_hi:[1,0]
	v_pk_fma_f16 v4, v4, s2, v11 op_sel_hi:[1,0,1]
	s_movk_i32 s2, 0x2b26
	v_pk_fma_f16 v7, v9, s0, v0 op_sel_hi:[1,0,1] neg_lo:[1,0,1] neg_hi:[1,0,1]
	s_movk_i32 s0, 0x370e
	v_pk_fma_f16 v9, v6, s1, v1 op_sel_hi:[1,0,1] neg_lo:[1,0,1] neg_hi:[1,0,1]
	v_pk_fma_f16 v3, v5, s2, v3 op_sel_hi:[1,0,1] neg_lo:[1,0,0] neg_hi:[1,0,0]
	;; [unrolled: 1-line block ×3, first 2 shown]
	v_pk_add_f16 v7, v7, v4
	v_pk_fma_f16 v9, v10, s0, v9 op_sel_hi:[1,0,1]
	v_pk_add_f16 v3, v3, v4
	v_pk_fma_f16 v1, v10, s0, v1 op_sel_hi:[1,0,1]
	v_pk_add_f16 v15, v7, v9
	v_pk_add_f16 v18, v7, v9 neg_lo:[0,1] neg_hi:[0,1]
	v_pk_add_f16 v16, v3, v1 neg_lo:[0,1] neg_hi:[0,1]
	v_pk_add_f16 v17, v3, v1
	v_mul_lo_u16_e32 v1, 7, v30
	v_lshl_add_u32 v34, v1, 2, v32
	v_bfi_b32 v1, s6, v18, v15
	v_bfi_b32 v3, s6, v17, v16
	ds_write2_b32 v34, v3, v1 offset0:4 offset1:5
	v_pk_mul_f16 v1, v6, s1 op_sel_hi:[1,0]
	v_pk_fma_f16 v0, v5, s2, v0 op_sel_hi:[1,0,1]
	v_pk_fma_f16 v1, v2, s3, v1 op_sel_hi:[1,0,1]
	v_pk_add_f16 v0, v0, v4
	v_pk_fma_f16 v1, v10, s0, v1 op_sel_hi:[1,0,1]
	v_pk_add_f16 v12, v0, v1
	v_pk_add_f16 v19, v0, v1 neg_lo:[0,1] neg_hi:[0,1]
	s_load_dwordx2 s[2:3], s[4:5], 0x38
	v_bfi_b32 v2, s6, v15, v18
	v_bfi_b32 v0, s6, v12, v19
	ds_write2_b32 v34, v0, v2 offset0:1 offset1:2
	v_mov_b32_e32 v0, s13
	v_addc_co_u32_e32 v14, vcc, 0, v0, vcc
	v_bfi_b32 v0, s6, v16, v17
	ds_write2_b32 v34, v11, v0 offset1:3
	v_bfi_b32 v0, s6, v19, v12
	v_cmp_gt_u16_e32 vcc, 7, v30
	v_lshrrev_b32_e32 v35, 16, v19
	v_lshrrev_b32_e32 v36, 16, v18
	;; [unrolled: 1-line block ×6, first 2 shown]
	ds_write_b32 v34, v0 offset:24
	s_waitcnt lgkmcnt(0)
	s_barrier
	s_and_saveexec_b64 s[0:1], vcc
	s_cbranch_execz .LBB0_3
; %bb.2:
	ds_read2_b32 v[11:12], v24 offset1:7
	ds_read2_b32 v[15:16], v24 offset0:14 offset1:21
	ds_read2_b32 v[17:18], v24 offset0:28 offset1:35
	;; [unrolled: 1-line block ×4, first 2 shown]
	ds_read_b32 v51, v24 offset:280
	s_waitcnt lgkmcnt(5)
	v_lshrrev_b32_e32 v35, 16, v12
	s_waitcnt lgkmcnt(4)
	v_lshrrev_b32_e32 v36, 16, v15
	v_lshrrev_b32_e32 v37, 16, v16
	s_waitcnt lgkmcnt(3)
	v_lshrrev_b32_e32 v42, 16, v17
	;; [unrolled: 3-line block ×5, first 2 shown]
.LBB0_3:
	s_or_b64 exec, exec, s[0:1]
	v_add_u32_e32 v0, -7, v30
	v_cndmask_b32_e32 v0, v0, v30, vcc
	v_mul_hi_i32_i24_e32 v1, 10, v0
	v_mul_i32_i24_e32 v0, 10, v0
	v_lshlrev_b64 v[0:1], 2, v[0:1]
	v_mov_b32_e32 v2, s15
	v_add_co_u32_e64 v38, s[0:1], s14, v0
	v_addc_co_u32_e64 v39, s[0:1], v2, v1, s[0:1]
	global_load_dwordx4 v[0:3], v[38:39], off
	global_load_dwordx4 v[4:7], v[38:39], off offset:16
	global_load_dwordx2 v[9:10], v[38:39], off offset:32
	s_movk_i32 s4, 0x36a6
	s_mov_b32 s5, 0xb93d
	s_mov_b32 s6, 0xb08e
	s_mov_b32 s7, 0xbbad
	s_movk_i32 s14, 0x3abb
	s_waitcnt vmcnt(2)
	v_mul_f16_sdwa v45, v17, v3 dst_sel:DWORD dst_unused:UNUSED_PAD src0_sel:DWORD src1_sel:WORD_1
	s_waitcnt vmcnt(1)
	v_mul_f16_sdwa v53, v18, v4 dst_sel:DWORD dst_unused:UNUSED_PAD src0_sel:DWORD src1_sel:WORD_1
	;; [unrolled: 2-line block ×3, first 2 shown]
	v_mul_f16_sdwa v63, v51, v10 dst_sel:DWORD dst_unused:UNUSED_PAD src0_sel:DWORD src1_sel:WORD_1
	v_mul_f16_sdwa v64, v12, v0 dst_sel:DWORD dst_unused:UNUSED_PAD src0_sel:DWORD src1_sel:WORD_1
	;; [unrolled: 1-line block ×7, first 2 shown]
	v_fma_f16 v45, v42, v3, v45
	v_fma_f16 v46, v46, v4, v53
	v_fma_f16 v42, v51, v10, -v62
	v_fma_f16 v51, v52, v10, v63
	v_fma_f16 v53, v35, v0, v64
	v_mul_f16_sdwa v38, v36, v1 dst_sel:DWORD dst_unused:UNUSED_PAD src0_sel:DWORD src1_sel:WORD_1
	v_mul_f16_sdwa v44, v16, v2 dst_sel:DWORD dst_unused:UNUSED_PAD src0_sel:DWORD src1_sel:WORD_1
	;; [unrolled: 1-line block ×5, first 2 shown]
	v_fma_f16 v43, v36, v1, v43
	v_fma_f16 v50, v50, v9, v61
	v_fma_f16 v52, v12, v0, -v65
	v_sub_f16_e32 v84, v53, v51
	v_mul_f16_sdwa v39, v37, v2 dst_sel:DWORD dst_unused:UNUSED_PAD src0_sel:DWORD src1_sel:WORD_1
	v_mul_f16_sdwa v55, v48, v6 dst_sel:DWORD dst_unused:UNUSED_PAD src0_sel:DWORD src1_sel:WORD_1
	;; [unrolled: 1-line block ×5, first 2 shown]
	v_fma_f16 v38, v15, v1, -v38
	v_fma_f16 v18, v18, v4, -v41
	;; [unrolled: 1-line block ×4, first 2 shown]
	v_fma_f16 v44, v37, v2, v44
	v_fma_f16 v49, v49, v7, v60
	v_add_f16_e32 v54, v52, v42
	v_sub_f16_e32 v82, v43, v50
	v_mul_f16_e32 v60, 0xbb47, v84
	v_fma_f16 v39, v16, v2, -v39
	v_fma_f16 v17, v17, v3, -v40
	;; [unrolled: 1-line block ×4, first 2 shown]
	v_fma_f16 v48, v48, v6, v57
	v_add_f16_e32 v55, v38, v41
	v_sub_f16_e32 v81, v44, v49
	v_mul_f16_e32 v59, 0xba0c, v82
	v_mul_f16_e32 v70, 0xbbeb, v84
	v_fma_f16 v12, v54, s4, v60
	v_fma_f16 v47, v47, v5, v56
	v_add_f16_e32 v56, v39, v40
	v_sub_f16_e32 v80, v45, v48
	v_mul_f16_e32 v66, 0x3482, v82
	v_mul_f16_e32 v61, 0x3482, v81
	v_fma_f16 v15, v55, s5, v59
	v_fma_f16 v16, v54, s6, v70
	v_add_f16_e32 v12, v12, v11
	v_add_f16_e32 v57, v17, v20
	v_sub_f16_e32 v86, v46, v47
	v_mul_f16_e32 v67, 0x3b47, v81
	v_mul_f16_e32 v62, 0x3beb, v80
	v_fma_f16 v21, v55, s7, v66
	v_fma_f16 v22, v56, s7, v61
	v_add_f16_e32 v16, v16, v11
	v_add_f16_e32 v12, v15, v12
	;; [unrolled: 1-line block ×3, first 2 shown]
	v_mul_f16_e32 v68, 0xb853, v80
	v_mul_f16_e32 v63, 0x3853, v86
	v_fma_f16 v35, v56, s4, v67
	v_fma_f16 v36, v57, s6, v62
	v_add_f16_e32 v15, v21, v16
	v_add_f16_e32 v12, v22, v12
	v_mul_f16_e32 v72, 0xba0c, v86
	v_fma_f16 v37, v57, s14, v68
	v_fma_f16 v64, v58, s14, v63
	v_add_f16_e32 v15, v35, v15
	v_add_f16_e32 v12, v36, v12
	;; [unrolled: 1-line block ×4, first 2 shown]
	v_fma_f16 v12, v58, s5, v72
	v_mul_f16_e32 v69, 0xb853, v84
	v_add_f16_e32 v15, v12, v15
	v_fma_f16 v12, v54, s14, v69
	v_mul_f16_e32 v71, 0xbb47, v82
	v_sub_f16_e32 v105, v52, v42
	v_add_f16_e32 v12, v12, v11
	v_fma_f16 v21, v55, s4, v71
	v_add_f16_e32 v64, v53, v51
	v_mul_f16_e32 v73, 0xb853, v105
	v_sub_f16_e32 v106, v38, v41
	v_add_f16_e32 v12, v21, v12
	v_fma_f16 v21, v64, s14, -v73
	v_add_f16_e32 v65, v43, v50
	v_mul_f16_e32 v74, 0xbb47, v106
	v_add_f16_sdwa v21, v21, v11 dst_sel:DWORD dst_unused:UNUSED_PAD src0_sel:DWORD src1_sel:WORD_1
	v_fma_f16 v22, v65, s4, -v74
	v_mul_f16_e32 v77, 0xbb47, v105
	v_add_f16_e32 v21, v22, v21
	v_fma_f16 v22, v64, s4, -v77
	v_mul_f16_e32 v78, 0xba0c, v106
	v_add_f16_sdwa v22, v22, v11 dst_sel:DWORD dst_unused:UNUSED_PAD src0_sel:DWORD src1_sel:WORD_1
	v_fma_f16 v35, v65, s5, -v78
	v_mul_f16_e32 v90, 0xbbeb, v105
	v_add_f16_e32 v22, v35, v22
	v_fma_f16 v35, v64, s6, -v90
	v_mul_f16_e32 v91, 0x3482, v106
	v_add_f16_sdwa v35, v35, v11 dst_sel:DWORD dst_unused:UNUSED_PAD src0_sel:DWORD src1_sel:WORD_1
	v_fma_f16 v36, v65, s7, -v91
	v_mul_f16_e32 v97, 0xba0c, v84
	v_add_f16_e32 v35, v36, v35
	v_fma_f16 v36, v54, s5, v97
	v_mul_f16_e32 v96, 0x3beb, v82
	v_add_f16_e32 v36, v36, v11
	v_fma_f16 v37, v55, s6, v96
	v_mul_f16_e32 v104, 0xba0c, v105
	v_add_f16_e32 v36, v37, v36
	v_fma_f16 v37, v64, s5, -v104
	v_mul_f16_e32 v103, 0x3beb, v106
	v_add_f16_sdwa v37, v37, v11 dst_sel:DWORD dst_unused:UNUSED_PAD src0_sel:DWORD src1_sel:WORD_1
	v_fma_f16 v75, v65, s6, -v103
	v_mul_f16_e32 v76, 0xbbeb, v81
	v_add_f16_e32 v37, v75, v37
	v_fma_f16 v75, v56, s6, v76
	v_sub_f16_e32 v110, v39, v40
	v_add_f16_e32 v12, v75, v12
	v_add_f16_e32 v75, v44, v49
	v_mul_f16_e32 v83, 0xbbeb, v110
	v_fma_f16 v79, v75, s6, -v83
	v_mul_f16_e32 v92, 0x3482, v110
	v_add_f16_e32 v21, v79, v21
	v_fma_f16 v79, v75, s7, -v92
	v_mul_f16_e32 v95, 0x3b47, v110
	v_add_f16_e32 v22, v79, v22
	v_fma_f16 v79, v75, s4, -v95
	v_mul_f16_e32 v100, 0xb853, v81
	v_add_f16_e32 v35, v79, v35
	v_fma_f16 v79, v56, s14, v100
	v_mul_f16_e32 v107, 0xb853, v110
	v_add_f16_e32 v36, v79, v36
	v_fma_f16 v79, v75, s14, -v107
	v_mul_f16_e32 v85, 0xba0c, v80
	v_add_f16_e32 v37, v79, v37
	v_fma_f16 v79, v57, s5, v85
	v_sub_f16_e32 v112, v17, v20
	v_add_f16_e32 v12, v79, v12
	v_add_f16_e32 v79, v45, v48
	v_mul_f16_e32 v88, 0xba0c, v112
	v_fma_f16 v87, v79, s5, -v88
	v_mul_f16_e32 v94, 0x3beb, v112
	v_add_f16_e32 v21, v87, v21
	v_fma_f16 v87, v79, s6, -v94
	v_mul_f16_e32 v99, 0xb853, v112
	v_add_f16_e32 v22, v87, v22
	;; [unrolled: 3-line block ×3, first 2 shown]
	v_fma_f16 v35, v57, s7, v101
	v_mul_f16_e32 v109, 0xb482, v112
	v_add_f16_e32 v114, v35, v36
	v_fma_f16 v35, v79, s7, -v109
	v_mul_f16_e32 v89, 0xb482, v86
	v_sub_f16_e32 v113, v18, v19
	v_add_f16_e32 v115, v35, v37
	v_fma_f16 v35, v58, s7, v89
	v_add_f16_e32 v87, v46, v47
	v_mul_f16_e32 v93, 0xb482, v113
	v_add_f16_e32 v36, v35, v12
	v_fma_f16 v12, v87, s7, -v93
	v_mul_f16_e32 v98, 0x3853, v113
	v_add_f16_e32 v37, v12, v21
	v_fma_f16 v12, v87, s14, -v98
	;; [unrolled: 3-line block ×4, first 2 shown]
	v_mul_f16_e32 v108, 0x3b47, v86
	v_add_f16_e32 v21, v12, v115
	v_fma_f16 v12, v58, s4, v108
	v_add_f16_e32 v12, v12, v114
	s_and_saveexec_b64 s[0:1], vcc
	s_cbranch_execz .LBB0_5
; %bb.4:
	v_mul_f16_e32 v121, 0xb93d, v64
	v_mul_f16_e32 v129, 0xb08e, v65
	v_add_f16_e32 v104, v104, v121
	v_add_f16_e32 v103, v103, v129
	v_add_f16_sdwa v104, v104, v11 dst_sel:DWORD dst_unused:UNUSED_PAD src0_sel:DWORD src1_sel:WORD_1
	v_add_f16_e32 v103, v103, v104
	v_mul_f16_e32 v104, 0x3abb, v75
	v_add_f16_e32 v104, v107, v104
	v_mul_f16_e32 v116, 0x36a6, v54
	v_mul_f16_e32 v120, 0xb93d, v54
	v_add_f16_e32 v103, v104, v103
	v_mul_f16_e32 v104, 0xbbad, v79
	v_mul_f16_e32 v124, 0xb93d, v55
	;; [unrolled: 1-line block ×4, first 2 shown]
	v_add_f16_e32 v104, v109, v104
	v_sub_f16_e32 v97, v120, v97
	v_sub_f16_e32 v60, v116, v60
	v_mul_f16_e32 v132, 0xbbad, v56
	v_fma_f16 v134, v64, s7, v105
	v_mul_f16_e32 v106, 0x3853, v106
	v_add_f16_e32 v103, v104, v103
	v_mul_f16_e32 v104, 0x36a6, v87
	v_sub_f16_e32 v96, v128, v96
	v_add_f16_e32 v97, v97, v11
	v_add_f16_e32 v60, v60, v11
	v_sub_f16_e32 v59, v124, v59
	v_add_f16_sdwa v134, v134, v11 dst_sel:DWORD dst_unused:UNUSED_PAD src0_sel:DWORD src1_sel:WORD_1
	v_fma_f16 v135, v65, s14, v106
	v_mul_f16_e32 v110, 0xba0c, v110
	v_add_f16_e32 v104, v111, v104
	v_mul_f16_e32 v111, 0xb08e, v57
	v_add_f16_e32 v96, v96, v97
	;; [unrolled: 2-line block ×3, first 2 shown]
	v_sub_f16_e32 v60, v132, v61
	v_add_f16_e32 v134, v135, v134
	v_fma_f16 v135, v75, s5, v110
	v_mul_f16_e32 v112, 0x3b47, v112
	v_sub_f16_e32 v97, v97, v101
	v_mul_f16_e32 v101, 0x3abb, v58
	v_add_f16_e32 v59, v60, v59
	v_sub_f16_e32 v60, v111, v62
	v_mul_f16_e32 v115, 0x3abb, v64
	v_add_f16_e32 v134, v135, v134
	v_fma_f16 v135, v79, s4, v112
	v_mul_f16_e32 v113, 0xbbeb, v113
	v_add_f16_e32 v59, v60, v59
	v_sub_f16_e32 v60, v101, v63
	v_mul_f16_e32 v123, 0x36a6, v65
	v_add_f16_e32 v134, v135, v134
	v_fma_f16 v135, v87, s6, v113
	v_mul_f16_e32 v84, 0xb482, v84
	v_add_f16_e32 v59, v60, v59
	v_add_f16_e32 v60, v73, v115
	v_mul_f16_e32 v131, 0xb08e, v75
	v_add_f16_e32 v134, v135, v134
	v_fma_f16 v135, v54, s7, -v84
	v_mul_f16_e32 v82, 0x3853, v82
	v_mul_f16_e32 v129, 0x3abb, v56
	v_add_f16_sdwa v60, v60, v11 dst_sel:DWORD dst_unused:UNUSED_PAD src0_sel:DWORD src1_sel:WORD_1
	v_add_f16_e32 v61, v74, v123
	v_add_f16_e32 v135, v135, v11
	v_fma_f16 v136, v55, s14, -v82
	v_mul_f16_e32 v81, 0xba0c, v81
	v_mul_f16_e32 v109, 0xb93d, v79
	v_sub_f16_e32 v100, v129, v100
	v_add_f16_e32 v60, v61, v60
	v_add_f16_e32 v61, v83, v131
	;; [unrolled: 1-line block ×3, first 2 shown]
	v_fma_f16 v136, v56, s5, -v81
	v_mul_f16_e32 v80, 0x3b47, v80
	v_add_f16_e32 v96, v100, v96
	v_mul_f16_e32 v100, 0xbbad, v87
	v_add_f16_e32 v60, v61, v60
	v_add_f16_e32 v61, v88, v109
	v_mul_f16_e32 v114, 0x3abb, v54
	v_mul_f16_e32 v118, 0xb08e, v54
	v_add_f16_e32 v135, v136, v135
	v_fma_f16 v136, v57, s4, -v80
	v_mul_f16_e32 v86, 0xbbeb, v86
	v_add_f16_e32 v60, v61, v60
	v_add_f16_e32 v61, v93, v100
	v_mul_f16_e32 v122, 0x36a6, v55
	v_mul_f16_e32 v126, 0xbbad, v55
	v_add_f16_e32 v135, v136, v135
	v_fma_f16 v136, v58, s6, -v86
	v_sub_f16_e32 v70, v118, v70
	v_add_f16_e32 v60, v61, v60
	v_sub_f16_e32 v61, v114, v69
	v_mul_f16_e32 v130, 0xb08e, v56
	v_add_f16_e32 v135, v136, v135
	v_mul_f16_e32 v136, 0x36a6, v56
	v_add_f16_e32 v96, v97, v96
	;; [unrolled: 2-line block ×3, first 2 shown]
	v_sub_f16_e32 v66, v126, v66
	v_add_f16_e32 v61, v61, v11
	v_sub_f16_e32 v62, v122, v71
	v_mul_f16_e32 v107, 0xb93d, v57
	v_mul_f16_e32 v120, 0x3abb, v57
	v_sub_f16_e32 v97, v97, v108
	v_add_f16_e32 v66, v66, v70
	v_sub_f16_e32 v67, v136, v67
	v_add_f16_e32 v61, v62, v61
	v_sub_f16_e32 v62, v130, v76
	v_mul_f16_e32 v129, 0xbbad, v58
	v_add_f16_e32 v96, v97, v96
	v_mul_f16_e32 v97, 0xb93d, v58
	v_add_f16_e32 v66, v67, v66
	v_sub_f16_e32 v67, v120, v68
	v_add_f16_e32 v61, v62, v61
	v_sub_f16_e32 v62, v107, v85
	v_mul_f16_e32 v117, 0x36a6, v64
	v_mul_f16_e32 v119, 0xb08e, v64
	v_add_f16_e32 v66, v67, v66
	v_sub_f16_e32 v67, v97, v72
	v_add_f16_e32 v61, v62, v61
	v_sub_f16_e32 v62, v129, v89
	v_add_f16_e32 v90, v90, v119
	v_add_f16_e32 v66, v67, v66
	;; [unrolled: 1-line block ×4, first 2 shown]
	v_fma_f16 v62, v64, s7, -v105
	v_fma_f16 v54, v54, s7, v84
	v_add_f16_sdwa v90, v90, v11 dst_sel:DWORD dst_unused:UNUSED_PAD src0_sel:DWORD src1_sel:WORD_1
	v_add_f16_sdwa v67, v67, v11 dst_sel:DWORD dst_unused:UNUSED_PAD src0_sel:DWORD src1_sel:WORD_1
	;; [unrolled: 1-line block ×3, first 2 shown]
	v_add_f16_e32 v54, v54, v11
	v_add_f16_sdwa v53, v53, v11 dst_sel:DWORD dst_unused:UNUSED_PAD src0_sel:DWORD src1_sel:WORD_1
	v_add_f16_e32 v11, v52, v11
	v_add_f16_e32 v43, v53, v43
	;; [unrolled: 1-line block ×9, first 2 shown]
	v_mul_f16_e32 v125, 0xb93d, v65
	v_add_f16_e32 v43, v43, v47
	v_add_f16_e32 v11, v11, v19
	v_mul_f16_e32 v127, 0xbbad, v65
	v_mul_f16_e32 v133, 0xbbad, v75
	v_add_f16_e32 v68, v78, v125
	v_add_f16_e32 v43, v43, v48
	;; [unrolled: 1-line block ×3, first 2 shown]
	v_mul_f16_e32 v121, 0x36a6, v75
	v_add_f16_e32 v103, v104, v103
	v_mul_f16_e32 v104, 0xb08e, v79
	v_add_f16_e32 v91, v91, v127
	v_add_f16_e32 v67, v68, v67
	;; [unrolled: 1-line block ×5, first 2 shown]
	v_mul_f16_e32 v128, 0x3abb, v79
	v_mul_f16_e32 v108, 0x3abb, v87
	v_add_f16_e32 v90, v91, v90
	v_add_f16_e32 v91, v95, v121
	v_add_f16_e32 v67, v68, v67
	v_add_f16_e32 v68, v94, v104
	v_fma_f16 v63, v65, s14, -v106
	v_fma_f16 v55, v55, s14, v82
	v_add_f16_e32 v43, v43, v50
	v_add_f16_e32 v11, v11, v41
	v_mul_f16_e32 v119, 0xb93d, v87
	v_add_f16_e32 v90, v91, v90
	v_add_f16_e32 v91, v99, v128
	;; [unrolled: 1-line block ×5, first 2 shown]
	v_fma_f16 v63, v75, s5, -v110
	v_add_f16_e32 v54, v55, v54
	v_fma_f16 v55, v56, s5, v81
	v_add_f16_sdwa v43, v43, v51 dst_sel:WORD_1 dst_unused:UNUSED_PAD src0_sel:DWORD src1_sel:DWORD
	v_add_f16_e32 v11, v11, v42
	v_add_f16_e32 v90, v91, v90
	v_add_f16_e32 v91, v102, v119
	v_add_f16_e32 v67, v68, v67
	v_add_f16_e32 v62, v63, v62
	v_fma_f16 v63, v79, s4, -v112
	v_add_f16_e32 v54, v55, v54
	v_fma_f16 v55, v57, s4, v80
	v_or_b32_e32 v11, v43, v11
	v_add_f16_e32 v90, v91, v90
	v_add_f16_e32 v62, v63, v62
	v_fma_f16 v63, v87, s6, -v113
	v_add_f16_e32 v54, v55, v54
	v_fma_f16 v55, v58, s6, v86
	ds_write_b32 v24, v11
	v_lshl_add_u32 v11, v30, 2, v32
	v_pack_b32_f16 v17, v61, v60
	v_pack_b32_f16 v18, v59, v67
	v_add_f16_e32 v62, v63, v62
	v_add_f16_e32 v54, v55, v54
	ds_write2_b32 v11, v17, v18 offset0:7 offset1:14
	v_pack_b32_f16 v17, v66, v90
	v_pack_b32_f16 v18, v96, v103
	ds_write2_b32 v11, v17, v18 offset0:21 offset1:28
	v_pack_b32_f16 v17, v135, v134
	v_pack_b32_f16 v18, v54, v62
	s_mov_b32 s4, 0x5040100
	ds_write2_b32 v11, v17, v18 offset0:35 offset1:42
	v_perm_b32 v17, v21, v12, s4
	v_perm_b32 v18, v22, v15, s4
	ds_write2_b32 v11, v17, v18 offset0:49 offset1:56
	v_perm_b32 v17, v35, v16, s4
	v_perm_b32 v18, v37, v36, s4
	ds_write2_b32 v11, v17, v18 offset0:63 offset1:70
.LBB0_5:
	s_or_b64 exec, exec, s[0:1]
	s_waitcnt lgkmcnt(0)
	s_barrier
	global_load_dword v11, v[13:14], off offset:308
	s_add_u32 s0, s12, 0x134
	s_addc_u32 s1, s13, 0
	global_load_dword v17, v33, s[0:1] offset:44
	global_load_dword v18, v33, s[0:1] offset:264
	;; [unrolled: 1-line block ×6, first 2 shown]
	ds_read2_b32 v[13:14], v24 offset1:11
	ds_read_b32 v33, v24 offset:264
	s_movk_i32 s0, 0x3a52
	s_movk_i32 s1, 0x39e0
	s_mov_b32 s5, 0xbb00
	s_waitcnt lgkmcnt(1)
	v_lshrrev_b32_e32 v40, 16, v13
	v_lshrrev_b32_e32 v41, 16, v14
	s_waitcnt lgkmcnt(0)
	v_lshrrev_b32_e32 v42, 16, v33
	s_mov_b32 s4, 0xb574
	s_mov_b32 s6, 0xbcab
	;; [unrolled: 1-line block ×4, first 2 shown]
	s_waitcnt vmcnt(6)
	v_mul_f16_sdwa v43, v40, v11 dst_sel:DWORD dst_unused:UNUSED_PAD src0_sel:DWORD src1_sel:WORD_1
	v_mul_f16_sdwa v44, v13, v11 dst_sel:DWORD dst_unused:UNUSED_PAD src0_sel:DWORD src1_sel:WORD_1
	v_fma_f16 v13, v13, v11, -v43
	v_fma_f16 v11, v40, v11, v44
	v_pack_b32_f16 v11, v13, v11
	s_waitcnt vmcnt(5)
	v_mul_f16_sdwa v13, v41, v17 dst_sel:DWORD dst_unused:UNUSED_PAD src0_sel:DWORD src1_sel:WORD_1
	v_mul_f16_sdwa v40, v14, v17 dst_sel:DWORD dst_unused:UNUSED_PAD src0_sel:DWORD src1_sel:WORD_1
	s_waitcnt vmcnt(4)
	v_mul_f16_sdwa v43, v42, v18 dst_sel:DWORD dst_unused:UNUSED_PAD src0_sel:DWORD src1_sel:WORD_1
	v_mul_f16_sdwa v44, v33, v18 dst_sel:DWORD dst_unused:UNUSED_PAD src0_sel:DWORD src1_sel:WORD_1
	ds_write_b32 v24, v11
	v_fma_f16 v11, v14, v17, -v13
	v_fma_f16 v17, v41, v17, v40
	v_fma_f16 v33, v33, v18, -v43
	ds_read2_b32 v[13:14], v24 offset0:22 offset1:33
	v_fma_f16 v40, v42, v18, v44
	v_pack_b32_f16 v11, v11, v17
	ds_read2_b32 v[17:18], v24 offset0:44 offset1:55
	v_pack_b32_f16 v33, v33, v40
	s_waitcnt lgkmcnt(1)
	v_lshrrev_b32_e32 v40, 16, v13
	s_waitcnt vmcnt(3)
	v_mul_f16_sdwa v41, v13, v19 dst_sel:DWORD dst_unused:UNUSED_PAD src0_sel:DWORD src1_sel:WORD_1
	v_lshrrev_b32_e32 v42, 16, v14
	s_waitcnt vmcnt(2)
	v_mul_f16_sdwa v43, v14, v20 dst_sel:DWORD dst_unused:UNUSED_PAD src0_sel:DWORD src1_sel:WORD_1
	s_waitcnt lgkmcnt(0)
	v_lshrrev_b32_e32 v44, 16, v17
	s_waitcnt vmcnt(1)
	v_mul_f16_sdwa v45, v17, v38 dst_sel:DWORD dst_unused:UNUSED_PAD src0_sel:DWORD src1_sel:WORD_1
	v_lshrrev_b32_e32 v46, 16, v18
	s_waitcnt vmcnt(0)
	v_mul_f16_sdwa v47, v18, v39 dst_sel:DWORD dst_unused:UNUSED_PAD src0_sel:DWORD src1_sel:WORD_1
	v_mul_f16_sdwa v48, v40, v19 dst_sel:DWORD dst_unused:UNUSED_PAD src0_sel:DWORD src1_sel:WORD_1
	v_fma_f16 v40, v40, v19, v41
	v_mul_f16_sdwa v41, v42, v20 dst_sel:DWORD dst_unused:UNUSED_PAD src0_sel:DWORD src1_sel:WORD_1
	v_fma_f16 v42, v42, v20, v43
	;; [unrolled: 2-line block ×4, first 2 shown]
	v_fma_f16 v13, v13, v19, -v48
	v_fma_f16 v14, v14, v20, -v41
	;; [unrolled: 1-line block ×4, first 2 shown]
	v_pack_b32_f16 v13, v13, v40
	v_pack_b32_f16 v14, v14, v42
	;; [unrolled: 1-line block ×4, first 2 shown]
	ds_write2_b32 v24, v11, v13 offset0:11 offset1:22
	ds_write2_b32 v24, v14, v17 offset0:33 offset1:44
	;; [unrolled: 1-line block ×3, first 2 shown]
	s_waitcnt lgkmcnt(0)
	s_barrier
	ds_read2_b32 v[13:14], v24 offset1:11
	ds_read2_b32 v[17:18], v24 offset0:22 offset1:33
	ds_read_b32 v11, v24 offset:264
	ds_read2_b32 v[19:20], v24 offset0:44 offset1:55
	s_waitcnt lgkmcnt(0)
	s_barrier
	v_pk_add_f16 v33, v14, v11
	v_pk_add_f16 v11, v14, v11 neg_lo:[0,1] neg_hi:[0,1]
	v_pk_add_f16 v14, v17, v20
	v_pk_add_f16 v17, v17, v20 neg_lo:[0,1] neg_hi:[0,1]
	;; [unrolled: 2-line block ×4, first 2 shown]
	v_pk_add_f16 v33, v33, v20 neg_lo:[0,1] neg_hi:[0,1]
	v_pk_add_f16 v39, v38, v17 op_sel:[1,1] op_sel_hi:[0,0]
	v_pk_add_f16 v41, v17, v11 op_sel:[1,1] op_sel_hi:[0,0] neg_lo:[0,1] neg_hi:[0,1]
	v_pk_add_f16 v18, v20, v18
	v_pk_mul_f16 v33, v33, s0 op_sel_hi:[1,0]
	v_pk_add_f16 v40, v11, v38 op_sel:[1,1] op_sel_hi:[0,0] neg_lo:[0,1] neg_hi:[0,1]
	v_pk_add_f16 v11, v39, v11 op_sel:[0,1] op_sel_hi:[1,0]
	v_pk_mul_f16 v39, v19, s1 op_sel_hi:[1,0]
	v_pk_mul_f16 v41, v41, s5 op_sel_hi:[1,0]
	v_pk_add_f16 v13, v18, v13
	v_pk_fma_f16 v19, v19, s1, v33 op_sel_hi:[1,0,1] neg_lo:[1,0,1] neg_hi:[1,0,1]
	v_pk_add_f16 v14, v20, v14 neg_lo:[0,1] neg_hi:[0,1]
	v_pk_add_f16 v38, v38, v17 op_sel:[1,1] op_sel_hi:[0,0] neg_lo:[0,1] neg_hi:[0,1]
	s_movk_i32 s0, 0x2b26
	s_movk_i32 s1, 0x3846
	v_pk_mul_f16 v42, v40, s4 op_sel_hi:[1,0]
	v_pk_fma_f16 v43, v18, s6, v13 op_sel_hi:[1,0,1]
	v_pk_fma_f16 v17, v14, s0, v39 op_sel_hi:[1,0,1] neg_lo:[1,0,0] neg_hi:[1,0,0]
	v_pk_fma_f16 v20, v38, s1, v41 op_sel_hi:[1,0,1] neg_lo:[1,0,0] neg_hi:[1,0,0]
	;; [unrolled: 1-line block ×3, first 2 shown]
	v_pk_add_f16 v17, v17, v43
	v_pk_fma_f16 v39, v11, s7, v20 op_sel_hi:[1,0,1]
	v_pk_fma_f16 v14, v14, s0, v33 op_sel_hi:[1,0,1]
	;; [unrolled: 1-line block ×4, first 2 shown]
	v_pk_add_f16 v40, v19, v43
	v_pk_add_f16 v20, v17, v39 neg_lo:[0,1] neg_hi:[0,1]
	v_pk_add_f16 v17, v17, v39
	v_pk_add_f16 v38, v14, v43
	v_pk_fma_f16 v11, v11, s7, v33 op_sel_hi:[1,0,1]
	v_pk_add_f16 v19, v40, v18
	v_pk_add_f16 v18, v40, v18 neg_lo:[0,1] neg_hi:[0,1]
	v_bfi_b32 v39, s12, v20, v17
	v_pk_add_f16 v14, v38, v11
	v_pk_add_f16 v11, v38, v11 neg_lo:[0,1] neg_hi:[0,1]
	v_bfi_b32 v40, s12, v19, v18
	ds_write2_b32 v34, v13, v39 offset1:3
	v_bfi_b32 v39, s12, v18, v19
	v_bfi_b32 v41, s12, v17, v20
	;; [unrolled: 1-line block ×4, first 2 shown]
	ds_write2_b32 v34, v41, v39 offset0:4 offset1:5
	v_lshrrev_b32_e32 v41, 16, v11
	ds_write2_b32 v34, v38, v40 offset0:1 offset1:2
	ds_write_b32 v34, v33 offset:24
	v_lshrrev_b32_e32 v40, 16, v18
	v_lshrrev_b32_e32 v39, 16, v17
	;; [unrolled: 1-line block ×5, first 2 shown]
	s_waitcnt lgkmcnt(0)
	s_barrier
	s_and_saveexec_b64 s[0:1], vcc
	s_cbranch_execz .LBB0_7
; %bb.6:
	ds_read2_b32 v[13:14], v24 offset1:7
	ds_read2_b32 v[19:20], v24 offset0:14 offset1:21
	ds_read2_b32 v[17:18], v24 offset0:28 offset1:35
	;; [unrolled: 1-line block ×4, first 2 shown]
	ds_read_b32 v36, v24 offset:280
	s_waitcnt lgkmcnt(5)
	v_lshrrev_b32_e32 v41, 16, v14
	s_waitcnt lgkmcnt(4)
	v_lshrrev_b32_e32 v40, 16, v19
	v_lshrrev_b32_e32 v39, 16, v20
	s_waitcnt lgkmcnt(3)
	v_lshrrev_b32_e32 v38, 16, v17
	;; [unrolled: 3-line block ×5, first 2 shown]
.LBB0_7:
	s_or_b64 exec, exec, s[0:1]
	s_and_saveexec_b64 s[0:1], vcc
	s_cbranch_execz .LBB0_9
; %bb.8:
	v_mul_f16_sdwa v43, v0, v14 dst_sel:DWORD dst_unused:UNUSED_PAD src0_sel:WORD_1 src1_sel:DWORD
	v_fma_f16 v43, v0, v41, -v43
	v_mul_f16_sdwa v41, v0, v41 dst_sel:DWORD dst_unused:UNUSED_PAD src0_sel:WORD_1 src1_sel:DWORD
	v_mul_f16_sdwa v42, v10, v36 dst_sel:DWORD dst_unused:UNUSED_PAD src0_sel:WORD_1 src1_sel:DWORD
	v_fma_f16 v0, v0, v14, v41
	v_mul_f16_sdwa v41, v1, v19 dst_sel:DWORD dst_unused:UNUSED_PAD src0_sel:WORD_1 src1_sel:DWORD
	v_fma_f16 v42, v10, v37, -v42
	v_mul_f16_sdwa v14, v10, v37 dst_sel:DWORD dst_unused:UNUSED_PAD src0_sel:WORD_1 src1_sel:DWORD
	v_mul_f16_sdwa v37, v9, v16 dst_sel:DWORD dst_unused:UNUSED_PAD src0_sel:WORD_1 src1_sel:DWORD
	v_fma_f16 v41, v1, v40, -v41
	v_mul_f16_sdwa v40, v1, v40 dst_sel:DWORD dst_unused:UNUSED_PAD src0_sel:WORD_1 src1_sel:DWORD
	v_add_f16_e32 v44, v42, v43
	v_fma_f16 v10, v10, v36, v14
	v_fma_f16 v37, v9, v35, -v37
	v_fma_f16 v1, v1, v19, v40
	v_mul_f16_sdwa v19, v9, v35 dst_sel:DWORD dst_unused:UNUSED_PAD src0_sel:WORD_1 src1_sel:DWORD
	v_mul_f16_e32 v45, 0xbbad, v44
	v_sub_f16_e32 v14, v0, v10
	s_movk_i32 s12, 0x3482
	v_add_f16_e32 v46, v37, v41
	v_fma_f16 v9, v9, v16, v19
	v_fma_f16 v36, v14, s12, v45
	v_mul_f16_e32 v47, 0x3abb, v46
	v_sub_f16_e32 v16, v1, v9
	s_mov_b32 s7, 0xb853
	v_add_f16_sdwa v36, v36, v13 dst_sel:DWORD dst_unused:UNUSED_PAD src0_sel:DWORD src1_sel:WORD_1
	v_fma_f16 v19, v16, s7, v47
	v_add_f16_e32 v19, v19, v36
	v_mul_f16_sdwa v36, v2, v20 dst_sel:DWORD dst_unused:UNUSED_PAD src0_sel:WORD_1 src1_sel:DWORD
	v_mul_f16_sdwa v35, v7, v15 dst_sel:DWORD dst_unused:UNUSED_PAD src0_sel:WORD_1 src1_sel:DWORD
	v_fma_f16 v36, v2, v39, -v36
	v_mul_f16_sdwa v39, v2, v39 dst_sel:DWORD dst_unused:UNUSED_PAD src0_sel:WORD_1 src1_sel:DWORD
	v_fma_f16 v35, v7, v22, -v35
	v_fma_f16 v2, v2, v20, v39
	v_mul_f16_sdwa v20, v7, v22 dst_sel:DWORD dst_unused:UNUSED_PAD src0_sel:WORD_1 src1_sel:DWORD
	v_add_f16_e32 v40, v35, v36
	v_fma_f16 v7, v7, v15, v20
	v_mul_f16_e32 v48, 0xb93d, v40
	v_sub_f16_e32 v15, v2, v7
	s_movk_i32 s21, 0x3a0c
	v_fma_f16 v20, v15, s21, v48
	v_mul_f16_sdwa v22, v3, v17 dst_sel:DWORD dst_unused:UNUSED_PAD src0_sel:WORD_1 src1_sel:DWORD
	v_add_f16_e32 v19, v20, v19
	v_mul_f16_sdwa v20, v6, v12 dst_sel:DWORD dst_unused:UNUSED_PAD src0_sel:WORD_1 src1_sel:DWORD
	v_fma_f16 v22, v3, v38, -v22
	v_mul_f16_sdwa v38, v3, v38 dst_sel:DWORD dst_unused:UNUSED_PAD src0_sel:WORD_1 src1_sel:DWORD
	v_fma_f16 v20, v6, v21, -v20
	v_fma_f16 v3, v3, v17, v38
	v_mul_f16_sdwa v17, v6, v21 dst_sel:DWORD dst_unused:UNUSED_PAD src0_sel:WORD_1 src1_sel:DWORD
	v_add_f16_e32 v39, v20, v22
	v_fma_f16 v6, v6, v12, v17
	v_mul_f16_e32 v49, 0x36a6, v39
	v_sub_f16_e32 v12, v3, v6
	s_mov_b32 s15, 0xbb47
	v_fma_f16 v17, v12, s15, v49
	v_mul_f16_sdwa v21, v4, v18 dst_sel:DWORD dst_unused:UNUSED_PAD src0_sel:WORD_1 src1_sel:DWORD
	v_add_f16_e32 v17, v17, v19
	v_mul_f16_sdwa v19, v5, v11 dst_sel:DWORD dst_unused:UNUSED_PAD src0_sel:WORD_1 src1_sel:DWORD
	v_fma_f16 v21, v4, v33, -v21
	v_mul_f16_sdwa v33, v4, v33 dst_sel:DWORD dst_unused:UNUSED_PAD src0_sel:WORD_1 src1_sel:DWORD
	v_fma_f16 v19, v5, v34, -v19
	v_fma_f16 v4, v4, v18, v33
	v_mul_f16_sdwa v18, v5, v34 dst_sel:DWORD dst_unused:UNUSED_PAD src0_sel:WORD_1 src1_sel:DWORD
	v_add_f16_e32 v38, v19, v21
	v_fma_f16 v5, v5, v11, v18
	v_mul_f16_e32 v50, 0xb08e, v38
	v_sub_f16_e32 v11, v4, v5
	s_movk_i32 s18, 0x3beb
	v_fma_f16 v18, v11, s18, v50
	v_sub_f16_e32 v33, v43, v42
	s_mov_b32 s4, 0xbbad
	v_add_f16_e32 v17, v18, v17
	v_add_f16_e32 v18, v10, v0
	v_mul_f16_e32 v34, 0xb482, v33
	v_sub_f16_e32 v53, v41, v37
	s_movk_i32 s5, 0x3abb
	v_fma_f16 v51, v18, s4, v34
	v_add_f16_e32 v52, v9, v1
	v_mul_f16_e32 v54, 0x3853, v53
	v_add_f16_e32 v51, v51, v13
	v_fma_f16 v55, v52, s5, v54
	v_sub_f16_e32 v56, v36, v35
	s_mov_b32 s6, 0xb93d
	v_add_f16_e32 v51, v55, v51
	v_add_f16_e32 v55, v7, v2
	v_mul_f16_e32 v57, 0xba0c, v56
	v_fma_f16 v58, v55, s6, v57
	v_sub_f16_e32 v59, v22, v20
	s_movk_i32 s13, 0x36a6
	v_add_f16_e32 v51, v58, v51
	v_add_f16_e32 v58, v6, v3
	v_mul_f16_e32 v60, 0x3b47, v59
	v_fma_f16 v61, v58, s13, v60
	v_sub_f16_e32 v62, v21, v19
	s_mov_b32 s14, 0xb08e
	v_add_f16_e32 v51, v61, v51
	v_add_f16_e32 v61, v5, v4
	v_mul_f16_e32 v63, 0xbbeb, v62
	v_fma_f16 v64, v61, s14, v63
	v_add_f16_e32 v51, v64, v51
	v_mul_f16_e32 v64, 0xb93d, v44
	s_mov_b32 s20, 0xbbeb
	v_fma_f16 v65, v14, s21, v64
	v_mul_f16_e32 v66, 0xb08e, v46
	v_add_f16_sdwa v65, v65, v13 dst_sel:DWORD dst_unused:UNUSED_PAD src0_sel:DWORD src1_sel:WORD_1
	v_fma_f16 v67, v16, s20, v66
	s_movk_i32 s19, 0x3853
	v_add_f16_e32 v65, v67, v65
	v_mul_f16_e32 v67, 0x3abb, v40
	v_fma_f16 v68, v15, s19, v67
	v_add_f16_e32 v65, v68, v65
	v_mul_f16_e32 v68, 0xbbad, v39
	v_fma_f16 v69, v12, s12, v68
	;; [unrolled: 3-line block ×4, first 2 shown]
	v_mul_f16_e32 v72, 0x3beb, v53
	v_add_f16_e32 v71, v71, v13
	v_fma_f16 v73, v52, s14, v72
	v_add_f16_e32 v71, v73, v71
	v_mul_f16_e32 v73, 0xb853, v56
	v_fma_f16 v74, v55, s5, v73
	v_add_f16_e32 v71, v74, v71
	v_mul_f16_e32 v74, 0xb482, v59
	;; [unrolled: 3-line block ×4, first 2 shown]
	s_mov_b32 s16, 0xb482
	v_fma_f16 v77, v14, s18, v76
	v_mul_f16_e32 v78, 0xbbad, v46
	v_add_f16_sdwa v77, v77, v13 dst_sel:DWORD dst_unused:UNUSED_PAD src0_sel:DWORD src1_sel:WORD_1
	v_fma_f16 v79, v16, s16, v78
	v_add_f16_e32 v77, v79, v77
	v_mul_f16_e32 v79, 0x36a6, v40
	v_fma_f16 v80, v15, s15, v79
	v_add_f16_e32 v77, v80, v77
	v_mul_f16_e32 v80, 0x3abb, v39
	;; [unrolled: 3-line block ×3, first 2 shown]
	v_fma_f16 v45, v14, s16, v45
	s_mov_b32 s17, 0xba0c
	v_fma_f16 v82, v11, s21, v81
	v_add_f16_sdwa v45, v45, v13 dst_sel:DWORD dst_unused:UNUSED_PAD src0_sel:DWORD src1_sel:WORD_1
	v_fma_f16 v47, v16, s19, v47
	s_movk_i32 s22, 0x3b47
	v_add_f16_e32 v77, v82, v77
	v_mul_f16_e32 v82, 0xbbeb, v33
	v_add_f16_e32 v45, v47, v45
	v_fma_f16 v47, v15, s17, v48
	v_fma_f16 v83, v18, s14, v82
	v_mul_f16_e32 v84, 0x3482, v53
	v_add_f16_e32 v45, v47, v45
	v_fma_f16 v47, v12, s22, v49
	v_add_f16_e32 v83, v83, v13
	v_fma_f16 v85, v52, s4, v84
	v_add_f16_e32 v45, v47, v45
	v_fma_f16 v47, v11, s20, v50
	v_fma_f16 v34, v18, s4, -v34
	v_add_f16_e32 v83, v85, v83
	v_mul_f16_e32 v85, 0x3b47, v56
	v_add_f16_e32 v45, v47, v45
	v_add_f16_e32 v34, v34, v13
	v_fma_f16 v47, v52, s5, -v54
	v_fma_f16 v86, v55, s13, v85
	v_add_f16_e32 v34, v47, v34
	v_fma_f16 v47, v55, s6, -v57
	v_add_f16_e32 v83, v86, v83
	v_mul_f16_e32 v86, 0xb853, v59
	v_add_f16_e32 v34, v47, v34
	v_fma_f16 v47, v58, s13, -v60
	v_fma_f16 v87, v58, s5, v86
	v_add_f16_e32 v34, v47, v34
	v_fma_f16 v47, v61, s14, -v63
	v_add_f16_e32 v83, v87, v83
	v_mul_f16_e32 v87, 0xba0c, v62
	v_add_f16_e32 v34, v47, v34
	v_fma_f16 v47, v14, s17, v64
	v_fma_f16 v88, v61, s6, v87
	v_add_f16_sdwa v47, v47, v13 dst_sel:DWORD dst_unused:UNUSED_PAD src0_sel:DWORD src1_sel:WORD_1
	v_fma_f16 v48, v16, s18, v66
	v_add_f16_e32 v83, v88, v83
	v_mul_f16_e32 v88, 0x36a6, v44
	v_add_f16_e32 v47, v48, v47
	v_fma_f16 v48, v15, s7, v67
	v_fma_f16 v89, v14, s22, v88
	v_mul_f16_e32 v90, 0xb93d, v46
	v_add_f16_e32 v47, v48, v47
	v_fma_f16 v48, v12, s16, v68
	v_add_f16_sdwa v89, v89, v13 dst_sel:DWORD dst_unused:UNUSED_PAD src0_sel:DWORD src1_sel:WORD_1
	v_fma_f16 v91, v16, s21, v90
	v_add_f16_e32 v47, v48, v47
	v_fma_f16 v48, v11, s22, v69
	v_add_f16_e32 v89, v91, v89
	v_mul_f16_e32 v91, 0xbbad, v40
	v_add_f16_e32 v47, v48, v47
	v_fma_f16 v48, v18, s6, -v70
	v_fma_f16 v92, v15, s16, v91
	v_add_f16_e32 v48, v48, v13
	v_fma_f16 v49, v52, s14, -v72
	v_add_f16_e32 v89, v92, v89
	v_mul_f16_e32 v92, 0xb08e, v39
	v_add_f16_e32 v48, v49, v48
	v_fma_f16 v49, v55, s5, -v73
	v_fma_f16 v93, v12, s20, v92
	v_add_f16_e32 v48, v49, v48
	v_fma_f16 v49, v58, s4, -v74
	v_add_f16_e32 v89, v93, v89
	v_mul_f16_e32 v93, 0x3abb, v38
	v_add_f16_e32 v48, v49, v48
	v_fma_f16 v49, v61, s13, -v75
	v_fma_f16 v94, v11, s7, v93
	v_add_f16_e32 v48, v49, v48
	v_fma_f16 v49, v14, s20, v76
	v_add_f16_e32 v89, v94, v89
	v_mul_f16_e32 v94, 0xbb47, v33
	v_add_f16_sdwa v49, v49, v13 dst_sel:DWORD dst_unused:UNUSED_PAD src0_sel:DWORD src1_sel:WORD_1
	v_fma_f16 v50, v16, s12, v78
	v_fma_f16 v95, v18, s13, v94
	v_mul_f16_e32 v96, 0xba0c, v53
	v_add_f16_e32 v49, v50, v49
	v_fma_f16 v50, v15, s22, v79
	v_add_f16_e32 v95, v95, v13
	v_fma_f16 v97, v52, s6, v96
	;; [unrolled: 2-line block ×3, first 2 shown]
	v_add_f16_e32 v95, v97, v95
	v_mul_f16_e32 v97, 0x3482, v56
	v_add_f16_e32 v49, v50, v49
	v_fma_f16 v50, v11, s17, v81
	v_fma_f16 v98, v55, s4, v97
	v_add_f16_e32 v49, v50, v49
	v_fma_f16 v50, v18, s14, -v82
	v_add_f16_e32 v95, v98, v95
	v_mul_f16_e32 v98, 0x3beb, v59
	v_add_f16_e32 v50, v50, v13
	v_fma_f16 v54, v52, s4, -v84
	v_fma_f16 v99, v58, s14, v98
	v_add_f16_e32 v50, v54, v50
	v_fma_f16 v54, v55, s13, -v85
	v_add_f16_e32 v95, v99, v95
	v_mul_f16_e32 v99, 0x3853, v62
	v_add_f16_e32 v50, v54, v50
	v_fma_f16 v54, v58, s5, -v86
	v_fma_f16 v100, v61, s5, v99
	v_mul_f16_e32 v44, 0x3abb, v44
	v_add_f16_e32 v50, v54, v50
	v_fma_f16 v54, v61, s6, -v87
	v_add_f16_e32 v95, v100, v95
	v_fma_f16 v100, v14, s19, v44
	v_mul_f16_e32 v46, 0x36a6, v46
	v_add_f16_e32 v50, v54, v50
	v_fma_f16 v54, v14, s15, v88
	v_fma_f16 v14, v14, s7, v44
	v_add_f16_sdwa v100, v100, v13 dst_sel:DWORD dst_unused:UNUSED_PAD src0_sel:DWORD src1_sel:WORD_1
	v_fma_f16 v101, v16, s22, v46
	v_mul_f16_e32 v40, 0xb08e, v40
	v_add_f16_sdwa v54, v54, v13 dst_sel:DWORD dst_unused:UNUSED_PAD src0_sel:DWORD src1_sel:WORD_1
	v_fma_f16 v57, v16, s17, v90
	v_add_f16_sdwa v14, v14, v13 dst_sel:DWORD dst_unused:UNUSED_PAD src0_sel:DWORD src1_sel:WORD_1
	v_fma_f16 v16, v16, s15, v46
	v_add_f16_e32 v100, v101, v100
	v_fma_f16 v101, v15, s18, v40
	v_mul_f16_e32 v39, 0xb93d, v39
	v_add_f16_e32 v54, v57, v54
	v_fma_f16 v57, v15, s12, v91
	v_add_f16_e32 v14, v16, v14
	v_fma_f16 v15, v15, s20, v40
	v_add_f16_e32 v100, v101, v100
	v_fma_f16 v101, v12, s21, v39
	v_mul_f16_e32 v38, 0xbbad, v38
	v_add_f16_e32 v54, v57, v54
	v_fma_f16 v57, v12, s18, v92
	v_add_f16_e32 v14, v15, v14
	;; [unrolled: 7-line block ×3, first 2 shown]
	v_fma_f16 v11, v11, s16, v38
	v_mul_f16_e32 v53, 0xbb47, v53
	v_add_f16_e32 v11, v11, v12
	v_fma_f16 v12, v18, s5, -v33
	v_mul_f16_e32 v56, 0xbbeb, v56
	v_add_f16_e32 v12, v12, v13
	v_fma_f16 v14, v52, s13, -v53
	;; [unrolled: 3-line block ×4, first 2 shown]
	v_add_f16_e32 v12, v14, v12
	v_fma_f16 v14, v61, s4, -v62
	v_add_f16_e32 v12, v14, v12
	v_add_f16_sdwa v14, v43, v13 dst_sel:DWORD dst_unused:UNUSED_PAD src0_sel:DWORD src1_sel:WORD_1
	v_add_f16_e32 v0, v0, v13
	v_add_f16_e32 v14, v41, v14
	;; [unrolled: 1-line block ×10, first 2 shown]
	v_fma_f16 v101, v18, s5, v33
	v_add_f16_e32 v14, v19, v14
	v_add_f16_e32 v0, v5, v0
	v_add_f16_e32 v101, v101, v13
	v_fma_f16 v102, v52, s13, v53
	v_add_f16_e32 v14, v20, v14
	v_add_f16_e32 v0, v6, v0
	v_add_f16_e32 v101, v102, v101
	;; [unrolled: 4-line block ×4, first 2 shown]
	v_fma_f16 v102, v61, s4, v62
	v_add_f16_e32 v54, v57, v54
	v_fma_f16 v57, v18, s13, -v94
	v_add_f16_sdwa v14, v42, v14 dst_sel:WORD_1 dst_unused:UNUSED_PAD src0_sel:DWORD src1_sel:DWORD
	v_add_f16_e32 v0, v10, v0
	v_add_f16_e32 v101, v102, v101
	;; [unrolled: 1-line block ×3, first 2 shown]
	v_fma_f16 v60, v52, s6, -v96
	v_or_b32_e32 v0, v14, v0
	v_add_f16_e32 v57, v60, v57
	v_fma_f16 v60, v55, s4, -v97
	ds_write_b32 v24, v0
	v_lshl_add_u32 v0, v30, 2, v32
	v_pack_b32_f16 v1, v101, v100
	v_pack_b32_f16 v2, v95, v89
	v_add_f16_e32 v57, v60, v57
	v_fma_f16 v60, v58, s14, -v98
	ds_write2_b32 v0, v1, v2 offset0:7 offset1:14
	v_pack_b32_f16 v1, v83, v77
	v_pack_b32_f16 v2, v71, v65
	v_add_f16_e32 v57, v60, v57
	v_fma_f16 v60, v61, s5, -v99
	ds_write2_b32 v0, v1, v2 offset0:21 offset1:28
	v_pack_b32_f16 v1, v51, v17
	v_pack_b32_f16 v2, v34, v45
	v_add_f16_e32 v57, v60, v57
	ds_write2_b32 v0, v1, v2 offset0:35 offset1:42
	v_pack_b32_f16 v1, v48, v47
	v_pack_b32_f16 v2, v50, v49
	ds_write2_b32 v0, v1, v2 offset0:49 offset1:56
	v_pack_b32_f16 v1, v57, v54
	v_pack_b32_f16 v2, v12, v11
	ds_write2_b32 v0, v1, v2 offset0:63 offset1:70
.LBB0_9:
	s_or_b64 exec, exec, s[0:1]
	s_waitcnt lgkmcnt(0)
	s_barrier
	ds_read2_b32 v[0:1], v24 offset1:11
	s_mov_b32 s4, 0x606a63be
	s_mov_b32 s5, 0x3f8a98ef
	v_mad_u64_u32 v[4:5], s[0:1], s10, v8, 0
	s_waitcnt lgkmcnt(0)
	v_lshrrev_b32_e32 v7, 16, v0
	v_mul_f16_sdwa v2, v31, v7 dst_sel:DWORD dst_unused:UNUSED_PAD src0_sel:WORD_1 src1_sel:DWORD
	v_fma_f16 v2, v31, v0, v2
	v_cvt_f32_f16_e32 v2, v2
	s_movk_i32 s6, 0x1ff
	v_mad_u64_u32 v[5:6], s[0:1], s11, v8, v[5:6]
	v_cvt_f64_f32_e32 v[2:3], v2
	s_movk_i32 s7, 0xffe
	v_mul_f16_sdwa v0, v31, v0 dst_sel:DWORD dst_unused:UNUSED_PAD src0_sel:WORD_1 src1_sel:DWORD
	v_fma_f16 v0, v31, v7, -v0
	v_mul_f64 v[2:3], v[2:3], s[4:5]
	v_cvt_f32_f16_e32 v7, v0
	v_mov_b32_e32 v0, 0x7c00
	s_movk_i32 s10, 0x40f
	s_mov_b32 s11, 0x8000
	v_and_or_b32 v2, v3, s6, v2
	v_cmp_ne_u32_e32 vcc, 0, v2
	v_lshrrev_b32_e32 v6, 8, v3
	v_bfe_u32 v8, v3, 20, 11
	v_cndmask_b32_e64 v2, 0, 1, vcc
	v_sub_u32_e32 v9, 0x3f1, v8
	v_and_or_b32 v2, v6, s7, v2
	v_or_b32_e32 v6, 0x1000, v2
	v_med3_i32 v9, v9, 0, 13
	v_lshrrev_b32_e32 v10, v9, v6
	v_lshlrev_b32_e32 v9, v9, v10
	v_cmp_ne_u32_e32 vcc, v9, v6
	v_cndmask_b32_e64 v6, 0, 1, vcc
	v_add_u32_e32 v8, 0xfffffc10, v8
	v_or_b32_e32 v6, v10, v6
	v_lshl_or_b32 v9, v8, 12, v2
	v_cmp_gt_i32_e32 vcc, 1, v8
	v_cndmask_b32_e32 v6, v9, v6, vcc
	v_and_b32_e32 v9, 7, v6
	v_cmp_lt_i32_e32 vcc, 5, v9
	v_cmp_eq_u32_e64 s[0:1], 3, v9
	v_lshrrev_b32_e32 v6, 2, v6
	s_or_b64 vcc, s[0:1], vcc
	v_addc_co_u32_e32 v9, vcc, 0, v6, vcc
	v_cvt_f64_f32_e32 v[6:7], v7
	v_cmp_gt_i32_e32 vcc, 31, v8
	v_cndmask_b32_e32 v9, v0, v9, vcc
	v_cmp_ne_u32_e32 vcc, 0, v2
	v_mul_f64 v[6:7], v[6:7], s[4:5]
	v_cndmask_b32_e64 v2, 0, 1, vcc
	v_lshl_or_b32 v2, v2, 9, v0
	v_cmp_eq_u32_e32 vcc, s10, v8
	v_cndmask_b32_e32 v2, v9, v2, vcc
	v_lshrrev_b32_e32 v3, 16, v3
	v_and_or_b32 v10, v3, s11, v2
	v_and_or_b32 v2, v7, s6, v6
	v_cmp_ne_u32_e32 vcc, 0, v2
	v_cndmask_b32_e64 v2, 0, 1, vcc
	v_lshrrev_b32_e32 v3, 8, v7
	v_and_or_b32 v6, v3, s7, v2
	v_bfe_u32 v3, v7, 20, 11
	v_sub_u32_e32 v8, 0x3f1, v3
	v_or_b32_e32 v2, 0x1000, v6
	v_med3_i32 v8, v8, 0, 13
	v_lshrrev_b32_e32 v9, v8, v2
	v_lshlrev_b32_e32 v8, v8, v9
	v_cmp_ne_u32_e32 vcc, v8, v2
	v_cndmask_b32_e64 v2, 0, 1, vcc
	v_add_u32_e32 v11, 0xfffffc10, v3
	v_or_b32_e32 v2, v9, v2
	v_lshl_or_b32 v3, v11, 12, v6
	v_cmp_gt_i32_e32 vcc, 1, v11
	v_cndmask_b32_e32 v2, v3, v2, vcc
	v_and_b32_e32 v3, 7, v2
	v_cmp_lt_i32_e32 vcc, 5, v3
	v_cmp_eq_u32_e64 s[0:1], 3, v3
	v_lshrrev_b32_e32 v2, 2, v2
	s_or_b64 vcc, s[0:1], vcc
	v_addc_co_u32_e32 v2, vcc, 0, v2, vcc
	v_cmp_gt_i32_e32 vcc, 31, v11
	v_cndmask_b32_e32 v12, v0, v2, vcc
	v_mad_u64_u32 v[2:3], s[0:1], s8, v30, 0
	v_cmp_ne_u32_e32 vcc, 0, v6
	v_cndmask_b32_e64 v6, 0, 1, vcc
	v_mad_u64_u32 v[8:9], s[0:1], s9, v30, v[3:4]
	v_lshl_or_b32 v6, v6, 9, v0
	v_cmp_eq_u32_e32 vcc, s10, v11
	v_cndmask_b32_e32 v3, v12, v6, vcc
	v_lshrrev_b32_e32 v6, 16, v7
	v_and_or_b32 v6, v6, s11, v3
	v_mov_b32_e32 v3, v8
	v_lshrrev_b32_e32 v8, 16, v1
	v_mul_f16_sdwa v9, v29, v8 dst_sel:DWORD dst_unused:UNUSED_PAD src0_sel:WORD_1 src1_sel:DWORD
	v_fma_f16 v9, v29, v1, v9
	v_cvt_f32_f16_e32 v9, v9
	v_and_b32_e32 v7, 0xffff, v10
	v_lshl_or_b32 v10, v6, 16, v7
	v_lshlrev_b64 v[4:5], 2, v[4:5]
	v_cvt_f64_f32_e32 v[6:7], v9
	v_mov_b32_e32 v11, s3
	v_add_co_u32_e32 v9, vcc, s2, v4
	v_addc_co_u32_e32 v11, vcc, v11, v5, vcc
	v_mul_f64 v[4:5], v[6:7], s[4:5]
	v_lshlrev_b64 v[2:3], 2, v[2:3]
	v_mul_f16_sdwa v1, v29, v1 dst_sel:DWORD dst_unused:UNUSED_PAD src0_sel:WORD_1 src1_sel:DWORD
	v_add_co_u32_e32 v2, vcc, v9, v2
	v_addc_co_u32_e32 v3, vcc, v11, v3, vcc
	global_store_dword v[2:3], v10, off
	v_and_or_b32 v4, v5, s6, v4
	v_cmp_ne_u32_e32 vcc, 0, v4
	v_cndmask_b32_e64 v4, 0, 1, vcc
	v_lshrrev_b32_e32 v9, 8, v5
	v_bfe_u32 v10, v5, 20, 11
	v_and_or_b32 v4, v9, s7, v4
	v_sub_u32_e32 v11, 0x3f1, v10
	v_or_b32_e32 v9, 0x1000, v4
	v_med3_i32 v11, v11, 0, 13
	v_lshrrev_b32_e32 v12, v11, v9
	v_lshlrev_b32_e32 v11, v11, v12
	v_cmp_ne_u32_e32 vcc, v11, v9
	v_fma_f16 v1, v29, v8, -v1
	v_cndmask_b32_e64 v9, 0, 1, vcc
	v_add_u32_e32 v10, 0xfffffc10, v10
	v_cvt_f32_f16_e32 v1, v1
	v_or_b32_e32 v9, v12, v9
	v_lshl_or_b32 v11, v10, 12, v4
	v_cmp_gt_i32_e32 vcc, 1, v10
	v_cndmask_b32_e32 v9, v11, v9, vcc
	v_and_b32_e32 v11, 7, v9
	v_cmp_lt_i32_e32 vcc, 5, v11
	v_cmp_eq_u32_e64 s[0:1], 3, v11
	v_lshrrev_b32_e32 v11, 2, v9
	v_cvt_f64_f32_e32 v[8:9], v1
	s_or_b64 vcc, s[0:1], vcc
	v_addc_co_u32_e32 v1, vcc, 0, v11, vcc
	v_mul_f64 v[8:9], v[8:9], s[4:5]
	v_cmp_gt_i32_e32 vcc, 31, v10
	v_cndmask_b32_e32 v1, v0, v1, vcc
	v_cmp_ne_u32_e32 vcc, 0, v4
	v_cndmask_b32_e64 v4, 0, 1, vcc
	v_lshl_or_b32 v4, v4, 9, v0
	v_cmp_eq_u32_e32 vcc, s10, v10
	v_cndmask_b32_e32 v1, v1, v4, vcc
	v_lshrrev_b32_e32 v4, 16, v5
	v_and_or_b32 v1, v4, s11, v1
	v_and_or_b32 v4, v9, s6, v8
	v_cmp_ne_u32_e32 vcc, 0, v4
	v_cndmask_b32_e64 v4, 0, 1, vcc
	v_lshrrev_b32_e32 v5, 8, v9
	v_bfe_u32 v8, v9, 20, 11
	v_and_or_b32 v4, v5, s7, v4
	v_sub_u32_e32 v10, 0x3f1, v8
	v_or_b32_e32 v5, 0x1000, v4
	v_med3_i32 v10, v10, 0, 13
	v_lshrrev_b32_e32 v11, v10, v5
	v_lshlrev_b32_e32 v10, v10, v11
	v_cmp_ne_u32_e32 vcc, v10, v5
	v_cndmask_b32_e64 v5, 0, 1, vcc
	v_add_u32_e32 v8, 0xfffffc10, v8
	v_or_b32_e32 v5, v11, v5
	v_lshl_or_b32 v10, v8, 12, v4
	v_cmp_gt_i32_e32 vcc, 1, v8
	v_cndmask_b32_e32 v5, v10, v5, vcc
	v_and_b32_e32 v10, 7, v5
	v_cmp_lt_i32_e32 vcc, 5, v10
	v_cmp_eq_u32_e64 s[0:1], 3, v10
	ds_read2_b32 v[6:7], v24 offset0:22 offset1:33
	v_lshrrev_b32_e32 v5, 2, v5
	s_or_b64 vcc, s[0:1], vcc
	v_addc_co_u32_e32 v5, vcc, 0, v5, vcc
	v_cmp_gt_i32_e32 vcc, 31, v8
	v_cndmask_b32_e32 v5, v0, v5, vcc
	v_cmp_ne_u32_e32 vcc, 0, v4
	v_cndmask_b32_e64 v4, 0, 1, vcc
	v_lshl_or_b32 v4, v4, 9, v0
	v_cmp_eq_u32_e32 vcc, s10, v8
	s_waitcnt lgkmcnt(0)
	v_lshrrev_b32_e32 v8, 16, v6
	v_cndmask_b32_e32 v4, v5, v4, vcc
	v_lshrrev_b32_e32 v5, 16, v9
	v_mul_f16_sdwa v9, v28, v8 dst_sel:DWORD dst_unused:UNUSED_PAD src0_sel:WORD_1 src1_sel:DWORD
	v_fma_f16 v9, v28, v6, v9
	v_cvt_f32_f16_e32 v9, v9
	v_and_or_b32 v4, v5, s11, v4
	v_and_b32_e32 v1, 0xffff, v1
	v_lshl_or_b32 v10, v4, 16, v1
	v_cvt_f64_f32_e32 v[4:5], v9
	s_mul_i32 s0, s9, 44
	s_mul_hi_u32 s2, s8, 44
	s_add_i32 s2, s2, s0
	v_mul_f64 v[4:5], v[4:5], s[4:5]
	s_mul_i32 s3, s8, 44
	v_mov_b32_e32 v9, s2
	v_add_co_u32_e32 v1, vcc, s3, v2
	v_addc_co_u32_e32 v2, vcc, v3, v9, vcc
	global_store_dword v[1:2], v10, off
	v_and_or_b32 v3, v5, s6, v4
	v_cmp_ne_u32_e32 vcc, 0, v3
	v_cndmask_b32_e64 v3, 0, 1, vcc
	v_lshrrev_b32_e32 v4, 8, v5
	v_and_or_b32 v9, v4, s7, v3
	v_bfe_u32 v4, v5, 20, 11
	v_sub_u32_e32 v10, 0x3f1, v4
	v_or_b32_e32 v3, 0x1000, v9
	v_med3_i32 v10, v10, 0, 13
	v_lshrrev_b32_e32 v11, v10, v3
	v_lshlrev_b32_e32 v10, v10, v11
	v_mul_f16_sdwa v6, v28, v6 dst_sel:DWORD dst_unused:UNUSED_PAD src0_sel:WORD_1 src1_sel:DWORD
	v_cmp_ne_u32_e32 vcc, v10, v3
	v_fma_f16 v6, v28, v8, -v6
	v_cndmask_b32_e64 v3, 0, 1, vcc
	v_add_u32_e32 v10, 0xfffffc10, v4
	v_cvt_f32_f16_e32 v6, v6
	v_or_b32_e32 v3, v11, v3
	v_lshl_or_b32 v4, v10, 12, v9
	v_cmp_gt_i32_e32 vcc, 1, v10
	v_cndmask_b32_e32 v3, v4, v3, vcc
	v_and_b32_e32 v4, 7, v3
	v_cmp_lt_i32_e32 vcc, 5, v4
	v_cmp_eq_u32_e64 s[0:1], 3, v4
	v_lshrrev_b32_e32 v8, 2, v3
	v_cvt_f64_f32_e32 v[3:4], v6
	s_or_b64 vcc, s[0:1], vcc
	v_addc_co_u32_e32 v6, vcc, 0, v8, vcc
	v_mul_f64 v[3:4], v[3:4], s[4:5]
	v_cmp_gt_i32_e32 vcc, 31, v10
	v_cndmask_b32_e32 v6, v0, v6, vcc
	v_cmp_ne_u32_e32 vcc, 0, v9
	v_cndmask_b32_e64 v8, 0, 1, vcc
	v_lshl_or_b32 v8, v8, 9, v0
	v_cmp_eq_u32_e32 vcc, s10, v10
	v_cndmask_b32_e32 v6, v6, v8, vcc
	v_and_or_b32 v3, v4, s6, v3
	v_lshrrev_b32_e32 v5, 16, v5
	v_cmp_ne_u32_e32 vcc, 0, v3
	v_and_or_b32 v8, v5, s11, v6
	v_cndmask_b32_e64 v3, 0, 1, vcc
	v_lshrrev_b32_e32 v5, 8, v4
	v_bfe_u32 v6, v4, 20, 11
	v_and_or_b32 v3, v5, s7, v3
	v_sub_u32_e32 v9, 0x3f1, v6
	v_or_b32_e32 v5, 0x1000, v3
	v_med3_i32 v9, v9, 0, 13
	v_lshrrev_b32_e32 v10, v9, v5
	v_lshlrev_b32_e32 v9, v9, v10
	v_cmp_ne_u32_e32 vcc, v9, v5
	v_cndmask_b32_e64 v5, 0, 1, vcc
	v_add_u32_e32 v6, 0xfffffc10, v6
	v_or_b32_e32 v5, v10, v5
	v_lshl_or_b32 v9, v6, 12, v3
	v_cmp_gt_i32_e32 vcc, 1, v6
	v_cndmask_b32_e32 v5, v9, v5, vcc
	v_and_b32_e32 v9, 7, v5
	v_cmp_lt_i32_e32 vcc, 5, v9
	v_cmp_eq_u32_e64 s[0:1], 3, v9
	v_lshrrev_b32_e32 v9, 16, v7
	v_lshrrev_b32_e32 v5, 2, v5
	s_or_b64 vcc, s[0:1], vcc
	v_mul_f16_sdwa v10, v27, v9 dst_sel:DWORD dst_unused:UNUSED_PAD src0_sel:WORD_1 src1_sel:DWORD
	v_addc_co_u32_e32 v5, vcc, 0, v5, vcc
	v_fma_f16 v10, v27, v7, v10
	v_cmp_gt_i32_e32 vcc, 31, v6
	v_cvt_f32_f16_e32 v10, v10
	v_cndmask_b32_e32 v5, v0, v5, vcc
	v_cmp_ne_u32_e32 vcc, 0, v3
	v_cndmask_b32_e64 v3, 0, 1, vcc
	v_lshl_or_b32 v3, v3, 9, v0
	v_cmp_eq_u32_e32 vcc, s10, v6
	v_cndmask_b32_e32 v3, v5, v3, vcc
	v_cvt_f64_f32_e32 v[5:6], v10
	v_lshrrev_b32_e32 v4, 16, v4
	v_and_or_b32 v10, v4, s11, v3
	v_add_co_u32_e32 v1, vcc, s3, v1
	v_mul_f64 v[3:4], v[5:6], s[4:5]
	v_mov_b32_e32 v6, s2
	v_and_b32_e32 v8, 0xffff, v8
	v_addc_co_u32_e32 v2, vcc, v2, v6, vcc
	v_lshl_or_b32 v5, v10, 16, v8
	global_store_dword v[1:2], v5, off
	v_mul_f16_sdwa v7, v27, v7 dst_sel:DWORD dst_unused:UNUSED_PAD src0_sel:WORD_1 src1_sel:DWORD
	v_and_or_b32 v3, v4, s6, v3
	v_cmp_ne_u32_e32 vcc, 0, v3
	v_cndmask_b32_e64 v3, 0, 1, vcc
	v_lshrrev_b32_e32 v5, 8, v4
	v_bfe_u32 v6, v4, 20, 11
	v_and_or_b32 v3, v5, s7, v3
	v_sub_u32_e32 v8, 0x3f1, v6
	v_or_b32_e32 v5, 0x1000, v3
	v_med3_i32 v8, v8, 0, 13
	v_lshrrev_b32_e32 v10, v8, v5
	v_lshlrev_b32_e32 v8, v8, v10
	v_cmp_ne_u32_e32 vcc, v8, v5
	v_fma_f16 v7, v27, v9, -v7
	v_cndmask_b32_e64 v5, 0, 1, vcc
	v_add_u32_e32 v8, 0xfffffc10, v6
	v_cvt_f32_f16_e32 v7, v7
	v_or_b32_e32 v5, v10, v5
	v_lshl_or_b32 v6, v8, 12, v3
	v_cmp_gt_i32_e32 vcc, 1, v8
	v_cndmask_b32_e32 v5, v6, v5, vcc
	v_and_b32_e32 v6, 7, v5
	v_cmp_lt_i32_e32 vcc, 5, v6
	v_cmp_eq_u32_e64 s[0:1], 3, v6
	v_lshrrev_b32_e32 v9, 2, v5
	v_cvt_f64_f32_e32 v[5:6], v7
	s_or_b64 vcc, s[0:1], vcc
	v_addc_co_u32_e32 v7, vcc, 0, v9, vcc
	v_mul_f64 v[5:6], v[5:6], s[4:5]
	v_cmp_gt_i32_e32 vcc, 31, v8
	v_cndmask_b32_e32 v7, v0, v7, vcc
	v_cmp_ne_u32_e32 vcc, 0, v3
	v_cndmask_b32_e64 v3, 0, 1, vcc
	v_lshl_or_b32 v3, v3, 9, v0
	v_cmp_eq_u32_e32 vcc, s10, v8
	v_cndmask_b32_e32 v3, v7, v3, vcc
	v_lshrrev_b32_e32 v4, 16, v4
	v_and_or_b32 v9, v4, s11, v3
	v_and_or_b32 v3, v6, s6, v5
	v_cmp_ne_u32_e32 vcc, 0, v3
	v_cndmask_b32_e64 v3, 0, 1, vcc
	v_lshrrev_b32_e32 v4, 8, v6
	v_and_or_b32 v5, v4, s7, v3
	v_bfe_u32 v4, v6, 20, 11
	v_sub_u32_e32 v7, 0x3f1, v4
	v_or_b32_e32 v3, 0x1000, v5
	v_med3_i32 v7, v7, 0, 13
	v_lshrrev_b32_e32 v8, v7, v3
	v_lshlrev_b32_e32 v7, v7, v8
	v_cmp_ne_u32_e32 vcc, v7, v3
	v_cndmask_b32_e64 v3, 0, 1, vcc
	v_add_u32_e32 v7, 0xfffffc10, v4
	v_or_b32_e32 v3, v8, v3
	v_lshl_or_b32 v4, v7, 12, v5
	v_cmp_gt_i32_e32 vcc, 1, v7
	v_cndmask_b32_e32 v3, v4, v3, vcc
	v_and_b32_e32 v4, 7, v3
	v_cmp_lt_i32_e32 vcc, 5, v4
	v_cmp_eq_u32_e64 s[0:1], 3, v4
	v_lshrrev_b32_e32 v3, 2, v3
	s_or_b64 vcc, s[0:1], vcc
	v_addc_co_u32_e32 v8, vcc, 0, v3, vcc
	ds_read2_b32 v[3:4], v24 offset0:44 offset1:55
	v_cmp_gt_i32_e32 vcc, 31, v7
	v_cndmask_b32_e32 v8, v0, v8, vcc
	v_cmp_ne_u32_e32 vcc, 0, v5
	v_cndmask_b32_e64 v5, 0, 1, vcc
	s_waitcnt lgkmcnt(0)
	v_lshrrev_b32_e32 v10, 16, v3
	v_mul_f16_sdwa v11, v26, v10 dst_sel:DWORD dst_unused:UNUSED_PAD src0_sel:WORD_1 src1_sel:DWORD
	v_fma_f16 v11, v26, v3, v11
	v_cvt_f32_f16_e32 v11, v11
	v_lshl_or_b32 v5, v5, 9, v0
	v_cmp_eq_u32_e32 vcc, s10, v7
	v_cndmask_b32_e32 v5, v8, v5, vcc
	v_cvt_f64_f32_e32 v[7:8], v11
	v_lshrrev_b32_e32 v6, 16, v6
	v_and_or_b32 v11, v6, s11, v5
	v_add_co_u32_e32 v1, vcc, s3, v1
	v_mul_f64 v[5:6], v[7:8], s[4:5]
	v_mov_b32_e32 v8, s2
	v_and_b32_e32 v9, 0xffff, v9
	v_addc_co_u32_e32 v2, vcc, v2, v8, vcc
	v_lshl_or_b32 v7, v11, 16, v9
	global_store_dword v[1:2], v7, off
	v_mul_f16_sdwa v3, v26, v3 dst_sel:DWORD dst_unused:UNUSED_PAD src0_sel:WORD_1 src1_sel:DWORD
	v_and_or_b32 v5, v6, s6, v5
	v_cmp_ne_u32_e32 vcc, 0, v5
	v_cndmask_b32_e64 v5, 0, 1, vcc
	v_lshrrev_b32_e32 v7, 8, v6
	v_bfe_u32 v8, v6, 20, 11
	v_and_or_b32 v5, v7, s7, v5
	v_sub_u32_e32 v9, 0x3f1, v8
	v_or_b32_e32 v7, 0x1000, v5
	v_med3_i32 v9, v9, 0, 13
	v_lshrrev_b32_e32 v11, v9, v7
	v_lshlrev_b32_e32 v9, v9, v11
	v_cmp_ne_u32_e32 vcc, v9, v7
	v_fma_f16 v3, v26, v10, -v3
	v_cndmask_b32_e64 v7, 0, 1, vcc
	v_add_u32_e32 v9, 0xfffffc10, v8
	v_cvt_f32_f16_e32 v3, v3
	v_or_b32_e32 v7, v11, v7
	v_lshl_or_b32 v8, v9, 12, v5
	v_cmp_gt_i32_e32 vcc, 1, v9
	v_cndmask_b32_e32 v7, v8, v7, vcc
	v_and_b32_e32 v8, 7, v7
	v_cmp_lt_i32_e32 vcc, 5, v8
	v_cmp_eq_u32_e64 s[0:1], 3, v8
	v_lshrrev_b32_e32 v10, 2, v7
	v_cvt_f64_f32_e32 v[7:8], v3
	s_or_b64 vcc, s[0:1], vcc
	v_addc_co_u32_e32 v3, vcc, 0, v10, vcc
	v_mul_f64 v[7:8], v[7:8], s[4:5]
	v_cmp_gt_i32_e32 vcc, 31, v9
	v_cndmask_b32_e32 v3, v0, v3, vcc
	v_cmp_ne_u32_e32 vcc, 0, v5
	v_cndmask_b32_e64 v5, 0, 1, vcc
	v_lshl_or_b32 v5, v5, 9, v0
	v_cmp_eq_u32_e32 vcc, s10, v9
	v_cndmask_b32_e32 v3, v3, v5, vcc
	v_lshrrev_b32_e32 v5, 16, v6
	v_and_or_b32 v3, v5, s11, v3
	v_and_or_b32 v5, v8, s6, v7
	v_cmp_ne_u32_e32 vcc, 0, v5
	v_cndmask_b32_e64 v5, 0, 1, vcc
	v_lshrrev_b32_e32 v6, 8, v8
	v_bfe_u32 v7, v8, 20, 11
	v_and_or_b32 v5, v6, s7, v5
	v_sub_u32_e32 v9, 0x3f1, v7
	v_or_b32_e32 v6, 0x1000, v5
	v_med3_i32 v9, v9, 0, 13
	v_lshrrev_b32_e32 v10, v9, v6
	v_lshlrev_b32_e32 v9, v9, v10
	v_cmp_ne_u32_e32 vcc, v9, v6
	v_cndmask_b32_e64 v6, 0, 1, vcc
	v_add_u32_e32 v7, 0xfffffc10, v7
	v_or_b32_e32 v6, v10, v6
	v_lshl_or_b32 v9, v7, 12, v5
	v_cmp_gt_i32_e32 vcc, 1, v7
	v_cndmask_b32_e32 v6, v9, v6, vcc
	v_and_b32_e32 v9, 7, v6
	v_cmp_lt_i32_e32 vcc, 5, v9
	v_cmp_eq_u32_e64 s[0:1], 3, v9
	v_lshrrev_b32_e32 v9, 16, v4
	v_lshrrev_b32_e32 v6, 2, v6
	s_or_b64 vcc, s[0:1], vcc
	v_mul_f16_sdwa v10, v25, v9 dst_sel:DWORD dst_unused:UNUSED_PAD src0_sel:WORD_1 src1_sel:DWORD
	v_addc_co_u32_e32 v6, vcc, 0, v6, vcc
	v_fma_f16 v10, v25, v4, v10
	v_cmp_gt_i32_e32 vcc, 31, v7
	v_cvt_f32_f16_e32 v10, v10
	v_cndmask_b32_e32 v6, v0, v6, vcc
	v_cmp_ne_u32_e32 vcc, 0, v5
	v_cndmask_b32_e64 v5, 0, 1, vcc
	v_lshl_or_b32 v5, v5, 9, v0
	v_cmp_eq_u32_e32 vcc, s10, v7
	v_cndmask_b32_e32 v7, v6, v5, vcc
	v_cvt_f64_f32_e32 v[5:6], v10
	v_lshrrev_b32_e32 v8, 16, v8
	v_and_or_b32 v7, v8, s11, v7
	v_and_b32_e32 v3, 0xffff, v3
	v_mul_f64 v[5:6], v[5:6], s[4:5]
	v_lshl_or_b32 v3, v7, 16, v3
	v_mov_b32_e32 v7, s2
	v_add_co_u32_e32 v1, vcc, s3, v1
	v_addc_co_u32_e32 v2, vcc, v2, v7, vcc
	global_store_dword v[1:2], v3, off
	v_and_or_b32 v3, v6, s6, v5
	v_cmp_ne_u32_e32 vcc, 0, v3
	v_cndmask_b32_e64 v3, 0, 1, vcc
	v_lshrrev_b32_e32 v5, 8, v6
	v_bfe_u32 v7, v6, 20, 11
	v_and_or_b32 v5, v5, s7, v3
	v_sub_u32_e32 v8, 0x3f1, v7
	v_or_b32_e32 v3, 0x1000, v5
	v_med3_i32 v8, v8, 0, 13
	v_lshrrev_b32_e32 v10, v8, v3
	v_lshlrev_b32_e32 v8, v8, v10
	v_mul_f16_sdwa v4, v25, v4 dst_sel:DWORD dst_unused:UNUSED_PAD src0_sel:WORD_1 src1_sel:DWORD
	v_cmp_ne_u32_e32 vcc, v8, v3
	v_fma_f16 v4, v25, v9, -v4
	v_cndmask_b32_e64 v3, 0, 1, vcc
	v_add_u32_e32 v7, 0xfffffc10, v7
	v_cvt_f32_f16_e32 v4, v4
	v_or_b32_e32 v3, v10, v3
	v_lshl_or_b32 v8, v7, 12, v5
	v_cmp_gt_i32_e32 vcc, 1, v7
	v_cndmask_b32_e32 v3, v8, v3, vcc
	v_and_b32_e32 v8, 7, v3
	v_cmp_lt_i32_e32 vcc, 5, v8
	v_cmp_eq_u32_e64 s[0:1], 3, v8
	v_lshrrev_b32_e32 v8, 2, v3
	v_cvt_f64_f32_e32 v[3:4], v4
	s_or_b64 vcc, s[0:1], vcc
	v_addc_co_u32_e32 v8, vcc, 0, v8, vcc
	v_mul_f64 v[3:4], v[3:4], s[4:5]
	v_cmp_gt_i32_e32 vcc, 31, v7
	v_cndmask_b32_e32 v8, v0, v8, vcc
	v_cmp_ne_u32_e32 vcc, 0, v5
	v_cndmask_b32_e64 v5, 0, 1, vcc
	v_lshl_or_b32 v5, v5, 9, v0
	v_cmp_eq_u32_e32 vcc, s10, v7
	v_cndmask_b32_e32 v5, v8, v5, vcc
	v_and_or_b32 v3, v4, s6, v3
	v_lshrrev_b32_e32 v6, 16, v6
	v_cmp_ne_u32_e32 vcc, 0, v3
	v_and_or_b32 v7, v6, s11, v5
	v_cndmask_b32_e64 v3, 0, 1, vcc
	v_lshrrev_b32_e32 v5, 8, v4
	v_bfe_u32 v6, v4, 20, 11
	v_and_or_b32 v3, v5, s7, v3
	v_sub_u32_e32 v8, 0x3f1, v6
	v_or_b32_e32 v5, 0x1000, v3
	v_med3_i32 v8, v8, 0, 13
	v_lshrrev_b32_e32 v9, v8, v5
	v_lshlrev_b32_e32 v8, v8, v9
	v_cmp_ne_u32_e32 vcc, v8, v5
	v_cndmask_b32_e64 v5, 0, 1, vcc
	v_add_u32_e32 v6, 0xfffffc10, v6
	v_or_b32_e32 v5, v9, v5
	v_lshl_or_b32 v8, v6, 12, v3
	v_cmp_gt_i32_e32 vcc, 1, v6
	v_cndmask_b32_e32 v5, v8, v5, vcc
	v_and_b32_e32 v8, 7, v5
	v_cmp_lt_i32_e32 vcc, 5, v8
	v_cmp_eq_u32_e64 s[0:1], 3, v8
	ds_read_b32 v8, v24 offset:264
	v_lshrrev_b32_e32 v5, 2, v5
	s_or_b64 vcc, s[0:1], vcc
	v_addc_co_u32_e32 v5, vcc, 0, v5, vcc
	s_waitcnt lgkmcnt(0)
	v_lshrrev_b32_e32 v9, 16, v8
	v_mul_f16_sdwa v10, v23, v9 dst_sel:DWORD dst_unused:UNUSED_PAD src0_sel:WORD_1 src1_sel:DWORD
	v_fma_f16 v10, v23, v8, v10
	v_cmp_gt_i32_e32 vcc, 31, v6
	v_cvt_f32_f16_e32 v10, v10
	v_cndmask_b32_e32 v5, v0, v5, vcc
	v_cmp_ne_u32_e32 vcc, 0, v3
	v_cndmask_b32_e64 v3, 0, 1, vcc
	v_lshl_or_b32 v3, v3, 9, v0
	v_cmp_eq_u32_e32 vcc, s10, v6
	v_cndmask_b32_e32 v3, v5, v3, vcc
	v_cvt_f64_f32_e32 v[5:6], v10
	v_lshrrev_b32_e32 v4, 16, v4
	v_and_or_b32 v10, v4, s11, v3
	v_add_co_u32_e32 v1, vcc, s3, v1
	v_mul_f64 v[3:4], v[5:6], s[4:5]
	v_mov_b32_e32 v6, s2
	v_and_b32_e32 v7, 0xffff, v7
	v_addc_co_u32_e32 v2, vcc, v2, v6, vcc
	v_lshl_or_b32 v5, v10, 16, v7
	global_store_dword v[1:2], v5, off
	v_mul_f16_sdwa v8, v23, v8 dst_sel:DWORD dst_unused:UNUSED_PAD src0_sel:WORD_1 src1_sel:DWORD
	v_and_or_b32 v3, v4, s6, v3
	v_cmp_ne_u32_e32 vcc, 0, v3
	v_cndmask_b32_e64 v3, 0, 1, vcc
	v_lshrrev_b32_e32 v5, 8, v4
	v_bfe_u32 v6, v4, 20, 11
	v_and_or_b32 v3, v5, s7, v3
	v_sub_u32_e32 v7, 0x3f1, v6
	v_or_b32_e32 v5, 0x1000, v3
	v_med3_i32 v7, v7, 0, 13
	v_lshrrev_b32_e32 v10, v7, v5
	v_lshlrev_b32_e32 v7, v7, v10
	v_cmp_ne_u32_e32 vcc, v7, v5
	v_fma_f16 v8, v23, v9, -v8
	v_cndmask_b32_e64 v5, 0, 1, vcc
	v_add_u32_e32 v7, 0xfffffc10, v6
	v_cvt_f32_f16_e32 v8, v8
	v_or_b32_e32 v5, v10, v5
	v_lshl_or_b32 v6, v7, 12, v3
	v_cmp_gt_i32_e32 vcc, 1, v7
	v_cndmask_b32_e32 v5, v6, v5, vcc
	v_and_b32_e32 v6, 7, v5
	v_cmp_lt_i32_e32 vcc, 5, v6
	v_cmp_eq_u32_e64 s[0:1], 3, v6
	v_lshrrev_b32_e32 v9, 2, v5
	v_cvt_f64_f32_e32 v[5:6], v8
	s_or_b64 vcc, s[0:1], vcc
	v_addc_co_u32_e32 v8, vcc, 0, v9, vcc
	v_mul_f64 v[5:6], v[5:6], s[4:5]
	v_cmp_gt_i32_e32 vcc, 31, v7
	v_cndmask_b32_e32 v8, v0, v8, vcc
	v_cmp_ne_u32_e32 vcc, 0, v3
	v_cndmask_b32_e64 v3, 0, 1, vcc
	v_lshl_or_b32 v3, v3, 9, v0
	v_cmp_eq_u32_e32 vcc, s10, v7
	v_cndmask_b32_e32 v3, v8, v3, vcc
	v_lshrrev_b32_e32 v4, 16, v4
	v_and_or_b32 v3, v4, s11, v3
	v_and_or_b32 v4, v6, s6, v5
	v_cmp_ne_u32_e32 vcc, 0, v4
	v_cndmask_b32_e64 v4, 0, 1, vcc
	v_lshrrev_b32_e32 v5, 8, v6
	v_bfe_u32 v7, v6, 20, 11
	v_and_or_b32 v4, v5, s7, v4
	v_sub_u32_e32 v8, 0x3f1, v7
	v_or_b32_e32 v5, 0x1000, v4
	v_med3_i32 v8, v8, 0, 13
	v_lshrrev_b32_e32 v9, v8, v5
	v_lshlrev_b32_e32 v8, v8, v9
	v_cmp_ne_u32_e32 vcc, v8, v5
	v_cndmask_b32_e64 v5, 0, 1, vcc
	v_add_u32_e32 v7, 0xfffffc10, v7
	v_or_b32_e32 v5, v9, v5
	v_lshl_or_b32 v8, v7, 12, v4
	v_cmp_gt_i32_e32 vcc, 1, v7
	v_cndmask_b32_e32 v5, v8, v5, vcc
	v_and_b32_e32 v8, 7, v5
	v_cmp_lt_i32_e32 vcc, 5, v8
	v_cmp_eq_u32_e64 s[0:1], 3, v8
	v_lshrrev_b32_e32 v5, 2, v5
	s_or_b64 vcc, s[0:1], vcc
	v_addc_co_u32_e32 v5, vcc, 0, v5, vcc
	v_cmp_gt_i32_e32 vcc, 31, v7
	v_cndmask_b32_e32 v5, v0, v5, vcc
	v_cmp_ne_u32_e32 vcc, 0, v4
	v_cndmask_b32_e64 v4, 0, 1, vcc
	v_lshl_or_b32 v0, v4, 9, v0
	v_cmp_eq_u32_e32 vcc, s10, v7
	v_cndmask_b32_e32 v0, v5, v0, vcc
	v_lshrrev_b32_e32 v4, 16, v6
	v_and_or_b32 v0, v4, s11, v0
	v_and_b32_e32 v3, 0xffff, v3
	v_lshl_or_b32 v3, v0, 16, v3
	v_mov_b32_e32 v4, s2
	v_add_co_u32_e32 v0, vcc, s3, v1
	v_addc_co_u32_e32 v1, vcc, v2, v4, vcc
	global_store_dword v[0:1], v3, off
.LBB0_10:
	s_endpgm
	.section	.rodata,"a",@progbits
	.p2align	6, 0x0
	.amdhsa_kernel bluestein_single_back_len77_dim1_half_op_CI_CI
		.amdhsa_group_segment_fixed_size 7084
		.amdhsa_private_segment_fixed_size 0
		.amdhsa_kernarg_size 104
		.amdhsa_user_sgpr_count 6
		.amdhsa_user_sgpr_private_segment_buffer 1
		.amdhsa_user_sgpr_dispatch_ptr 0
		.amdhsa_user_sgpr_queue_ptr 0
		.amdhsa_user_sgpr_kernarg_segment_ptr 1
		.amdhsa_user_sgpr_dispatch_id 0
		.amdhsa_user_sgpr_flat_scratch_init 0
		.amdhsa_user_sgpr_private_segment_size 0
		.amdhsa_uses_dynamic_stack 0
		.amdhsa_system_sgpr_private_segment_wavefront_offset 0
		.amdhsa_system_sgpr_workgroup_id_x 1
		.amdhsa_system_sgpr_workgroup_id_y 0
		.amdhsa_system_sgpr_workgroup_id_z 0
		.amdhsa_system_sgpr_workgroup_info 0
		.amdhsa_system_vgpr_workitem_id 0
		.amdhsa_next_free_vgpr 137
		.amdhsa_next_free_sgpr 23
		.amdhsa_reserve_vcc 1
		.amdhsa_reserve_flat_scratch 0
		.amdhsa_float_round_mode_32 0
		.amdhsa_float_round_mode_16_64 0
		.amdhsa_float_denorm_mode_32 3
		.amdhsa_float_denorm_mode_16_64 3
		.amdhsa_dx10_clamp 1
		.amdhsa_ieee_mode 1
		.amdhsa_fp16_overflow 0
		.amdhsa_exception_fp_ieee_invalid_op 0
		.amdhsa_exception_fp_denorm_src 0
		.amdhsa_exception_fp_ieee_div_zero 0
		.amdhsa_exception_fp_ieee_overflow 0
		.amdhsa_exception_fp_ieee_underflow 0
		.amdhsa_exception_fp_ieee_inexact 0
		.amdhsa_exception_int_div_zero 0
	.end_amdhsa_kernel
	.text
.Lfunc_end0:
	.size	bluestein_single_back_len77_dim1_half_op_CI_CI, .Lfunc_end0-bluestein_single_back_len77_dim1_half_op_CI_CI
                                        ; -- End function
	.section	.AMDGPU.csdata,"",@progbits
; Kernel info:
; codeLenInByte = 11128
; NumSgprs: 27
; NumVgprs: 137
; ScratchSize: 0
; MemoryBound: 0
; FloatMode: 240
; IeeeMode: 1
; LDSByteSize: 7084 bytes/workgroup (compile time only)
; SGPRBlocks: 3
; VGPRBlocks: 34
; NumSGPRsForWavesPerEU: 27
; NumVGPRsForWavesPerEU: 137
; Occupancy: 1
; WaveLimiterHint : 1
; COMPUTE_PGM_RSRC2:SCRATCH_EN: 0
; COMPUTE_PGM_RSRC2:USER_SGPR: 6
; COMPUTE_PGM_RSRC2:TRAP_HANDLER: 0
; COMPUTE_PGM_RSRC2:TGID_X_EN: 1
; COMPUTE_PGM_RSRC2:TGID_Y_EN: 0
; COMPUTE_PGM_RSRC2:TGID_Z_EN: 0
; COMPUTE_PGM_RSRC2:TIDIG_COMP_CNT: 0
	.type	__hip_cuid_1bc9afea32c7c692,@object ; @__hip_cuid_1bc9afea32c7c692
	.section	.bss,"aw",@nobits
	.globl	__hip_cuid_1bc9afea32c7c692
__hip_cuid_1bc9afea32c7c692:
	.byte	0                               ; 0x0
	.size	__hip_cuid_1bc9afea32c7c692, 1

	.ident	"AMD clang version 19.0.0git (https://github.com/RadeonOpenCompute/llvm-project roc-6.4.0 25133 c7fe45cf4b819c5991fe208aaa96edf142730f1d)"
	.section	".note.GNU-stack","",@progbits
	.addrsig
	.addrsig_sym __hip_cuid_1bc9afea32c7c692
	.amdgpu_metadata
---
amdhsa.kernels:
  - .args:
      - .actual_access:  read_only
        .address_space:  global
        .offset:         0
        .size:           8
        .value_kind:     global_buffer
      - .actual_access:  read_only
        .address_space:  global
        .offset:         8
        .size:           8
        .value_kind:     global_buffer
      - .actual_access:  read_only
        .address_space:  global
        .offset:         16
        .size:           8
        .value_kind:     global_buffer
      - .actual_access:  read_only
        .address_space:  global
        .offset:         24
        .size:           8
        .value_kind:     global_buffer
      - .actual_access:  read_only
        .address_space:  global
        .offset:         32
        .size:           8
        .value_kind:     global_buffer
      - .offset:         40
        .size:           8
        .value_kind:     by_value
      - .address_space:  global
        .offset:         48
        .size:           8
        .value_kind:     global_buffer
      - .address_space:  global
        .offset:         56
        .size:           8
        .value_kind:     global_buffer
      - .address_space:  global
        .offset:         64
        .size:           8
        .value_kind:     global_buffer
      - .address_space:  global
        .offset:         72
        .size:           8
        .value_kind:     global_buffer
      - .offset:         80
        .size:           4
        .value_kind:     by_value
      - .address_space:  global
        .offset:         88
        .size:           8
        .value_kind:     global_buffer
      - .address_space:  global
        .offset:         96
        .size:           8
        .value_kind:     global_buffer
    .group_segment_fixed_size: 7084
    .kernarg_segment_align: 8
    .kernarg_segment_size: 104
    .language:       OpenCL C
    .language_version:
      - 2
      - 0
    .max_flat_workgroup_size: 253
    .name:           bluestein_single_back_len77_dim1_half_op_CI_CI
    .private_segment_fixed_size: 0
    .sgpr_count:     27
    .sgpr_spill_count: 0
    .symbol:         bluestein_single_back_len77_dim1_half_op_CI_CI.kd
    .uniform_work_group_size: 1
    .uses_dynamic_stack: false
    .vgpr_count:     137
    .vgpr_spill_count: 0
    .wavefront_size: 64
amdhsa.target:   amdgcn-amd-amdhsa--gfx906
amdhsa.version:
  - 1
  - 2
...

	.end_amdgpu_metadata
